;; amdgpu-corpus repo=ROCm/rocFFT kind=compiled arch=gfx1201 opt=O3
	.text
	.amdgcn_target "amdgcn-amd-amdhsa--gfx1201"
	.amdhsa_code_object_version 6
	.protected	fft_rtc_fwd_len4050_factors_10_5_3_3_3_3_wgs_135_tpt_135_halfLds_dp_op_CI_CI_unitstride_sbrr_C2R_dirReg ; -- Begin function fft_rtc_fwd_len4050_factors_10_5_3_3_3_3_wgs_135_tpt_135_halfLds_dp_op_CI_CI_unitstride_sbrr_C2R_dirReg
	.globl	fft_rtc_fwd_len4050_factors_10_5_3_3_3_3_wgs_135_tpt_135_halfLds_dp_op_CI_CI_unitstride_sbrr_C2R_dirReg
	.p2align	8
	.type	fft_rtc_fwd_len4050_factors_10_5_3_3_3_3_wgs_135_tpt_135_halfLds_dp_op_CI_CI_unitstride_sbrr_C2R_dirReg,@function
fft_rtc_fwd_len4050_factors_10_5_3_3_3_3_wgs_135_tpt_135_halfLds_dp_op_CI_CI_unitstride_sbrr_C2R_dirReg: ; @fft_rtc_fwd_len4050_factors_10_5_3_3_3_3_wgs_135_tpt_135_halfLds_dp_op_CI_CI_unitstride_sbrr_C2R_dirReg
; %bb.0:
	s_clause 0x2
	s_load_b128 s[8:11], s[0:1], 0x0
	s_load_b128 s[4:7], s[0:1], 0x58
	;; [unrolled: 1-line block ×3, first 2 shown]
	v_mul_u32_u24_e32 v1, 0x1e6, v0
	v_mov_b32_e32 v3, 0
	s_delay_alu instid0(VALU_DEP_2) | instskip(NEXT) | instid1(VALU_DEP_1)
	v_lshrrev_b32_e32 v1, 16, v1
	v_add_nc_u32_e32 v5, ttmp9, v1
	v_mov_b32_e32 v1, 0
	v_mov_b32_e32 v2, 0
	;; [unrolled: 1-line block ×3, first 2 shown]
	s_wait_kmcnt 0x0
	v_cmp_lt_u64_e64 s2, s[10:11], 2
	s_delay_alu instid0(VALU_DEP_1)
	s_and_b32 vcc_lo, exec_lo, s2
	s_cbranch_vccnz .LBB0_8
; %bb.1:
	s_load_b64 s[2:3], s[0:1], 0x10
	v_mov_b32_e32 v1, 0
	v_mov_b32_e32 v2, 0
	s_add_nc_u64 s[16:17], s[14:15], 8
	s_add_nc_u64 s[18:19], s[12:13], 8
	s_mov_b64 s[20:21], 1
	s_delay_alu instid0(VALU_DEP_1)
	v_dual_mov_b32 v119, v2 :: v_dual_mov_b32 v118, v1
	s_wait_kmcnt 0x0
	s_add_nc_u64 s[22:23], s[2:3], 8
	s_mov_b32 s3, 0
.LBB0_2:                                ; =>This Inner Loop Header: Depth=1
	s_load_b64 s[24:25], s[22:23], 0x0
                                        ; implicit-def: $vgpr120_vgpr121
	s_mov_b32 s2, exec_lo
	s_wait_kmcnt 0x0
	v_or_b32_e32 v4, s25, v6
	s_delay_alu instid0(VALU_DEP_1)
	v_cmpx_ne_u64_e32 0, v[3:4]
	s_wait_alu 0xfffe
	s_xor_b32 s26, exec_lo, s2
	s_cbranch_execz .LBB0_4
; %bb.3:                                ;   in Loop: Header=BB0_2 Depth=1
	s_cvt_f32_u32 s2, s24
	s_cvt_f32_u32 s27, s25
	s_sub_nc_u64 s[30:31], 0, s[24:25]
	s_wait_alu 0xfffe
	s_delay_alu instid0(SALU_CYCLE_1) | instskip(SKIP_1) | instid1(SALU_CYCLE_2)
	s_fmamk_f32 s2, s27, 0x4f800000, s2
	s_wait_alu 0xfffe
	v_s_rcp_f32 s2, s2
	s_delay_alu instid0(TRANS32_DEP_1) | instskip(SKIP_1) | instid1(SALU_CYCLE_2)
	s_mul_f32 s2, s2, 0x5f7ffffc
	s_wait_alu 0xfffe
	s_mul_f32 s27, s2, 0x2f800000
	s_wait_alu 0xfffe
	s_delay_alu instid0(SALU_CYCLE_2) | instskip(SKIP_1) | instid1(SALU_CYCLE_2)
	s_trunc_f32 s27, s27
	s_wait_alu 0xfffe
	s_fmamk_f32 s2, s27, 0xcf800000, s2
	s_cvt_u32_f32 s29, s27
	s_wait_alu 0xfffe
	s_delay_alu instid0(SALU_CYCLE_1) | instskip(SKIP_1) | instid1(SALU_CYCLE_2)
	s_cvt_u32_f32 s28, s2
	s_wait_alu 0xfffe
	s_mul_u64 s[34:35], s[30:31], s[28:29]
	s_wait_alu 0xfffe
	s_mul_hi_u32 s37, s28, s35
	s_mul_i32 s36, s28, s35
	s_mul_hi_u32 s2, s28, s34
	s_mul_i32 s33, s29, s34
	s_wait_alu 0xfffe
	s_add_nc_u64 s[36:37], s[2:3], s[36:37]
	s_mul_hi_u32 s27, s29, s34
	s_mul_hi_u32 s38, s29, s35
	s_add_co_u32 s2, s36, s33
	s_wait_alu 0xfffe
	s_add_co_ci_u32 s2, s37, s27
	s_mul_i32 s34, s29, s35
	s_add_co_ci_u32 s35, s38, 0
	s_wait_alu 0xfffe
	s_add_nc_u64 s[34:35], s[2:3], s[34:35]
	s_wait_alu 0xfffe
	v_add_co_u32 v4, s2, s28, s34
	s_delay_alu instid0(VALU_DEP_1) | instskip(SKIP_1) | instid1(VALU_DEP_1)
	s_cmp_lg_u32 s2, 0
	s_add_co_ci_u32 s29, s29, s35
	v_readfirstlane_b32 s28, v4
	s_wait_alu 0xfffe
	s_delay_alu instid0(VALU_DEP_1)
	s_mul_u64 s[30:31], s[30:31], s[28:29]
	s_wait_alu 0xfffe
	s_mul_hi_u32 s35, s28, s31
	s_mul_i32 s34, s28, s31
	s_mul_hi_u32 s2, s28, s30
	s_mul_i32 s33, s29, s30
	s_wait_alu 0xfffe
	s_add_nc_u64 s[34:35], s[2:3], s[34:35]
	s_mul_hi_u32 s27, s29, s30
	s_mul_hi_u32 s28, s29, s31
	s_wait_alu 0xfffe
	s_add_co_u32 s2, s34, s33
	s_add_co_ci_u32 s2, s35, s27
	s_mul_i32 s30, s29, s31
	s_add_co_ci_u32 s31, s28, 0
	s_wait_alu 0xfffe
	s_add_nc_u64 s[30:31], s[2:3], s[30:31]
	s_wait_alu 0xfffe
	v_add_co_u32 v4, s2, v4, s30
	s_delay_alu instid0(VALU_DEP_1) | instskip(SKIP_1) | instid1(VALU_DEP_1)
	s_cmp_lg_u32 s2, 0
	s_add_co_ci_u32 s2, s29, s31
	v_mul_hi_u32 v13, v5, v4
	s_wait_alu 0xfffe
	v_mad_co_u64_u32 v[7:8], null, v5, s2, 0
	v_mad_co_u64_u32 v[9:10], null, v6, v4, 0
	;; [unrolled: 1-line block ×3, first 2 shown]
	s_delay_alu instid0(VALU_DEP_3) | instskip(SKIP_1) | instid1(VALU_DEP_4)
	v_add_co_u32 v4, vcc_lo, v13, v7
	s_wait_alu 0xfffd
	v_add_co_ci_u32_e32 v7, vcc_lo, 0, v8, vcc_lo
	s_delay_alu instid0(VALU_DEP_2) | instskip(SKIP_1) | instid1(VALU_DEP_2)
	v_add_co_u32 v4, vcc_lo, v4, v9
	s_wait_alu 0xfffd
	v_add_co_ci_u32_e32 v4, vcc_lo, v7, v10, vcc_lo
	s_wait_alu 0xfffd
	v_add_co_ci_u32_e32 v7, vcc_lo, 0, v12, vcc_lo
	s_delay_alu instid0(VALU_DEP_2) | instskip(SKIP_1) | instid1(VALU_DEP_2)
	v_add_co_u32 v4, vcc_lo, v4, v11
	s_wait_alu 0xfffd
	v_add_co_ci_u32_e32 v9, vcc_lo, 0, v7, vcc_lo
	s_delay_alu instid0(VALU_DEP_2) | instskip(SKIP_1) | instid1(VALU_DEP_3)
	v_mul_lo_u32 v10, s25, v4
	v_mad_co_u64_u32 v[7:8], null, s24, v4, 0
	v_mul_lo_u32 v11, s24, v9
	s_delay_alu instid0(VALU_DEP_2) | instskip(NEXT) | instid1(VALU_DEP_2)
	v_sub_co_u32 v7, vcc_lo, v5, v7
	v_add3_u32 v8, v8, v11, v10
	s_delay_alu instid0(VALU_DEP_1) | instskip(SKIP_1) | instid1(VALU_DEP_1)
	v_sub_nc_u32_e32 v10, v6, v8
	s_wait_alu 0xfffd
	v_subrev_co_ci_u32_e64 v10, s2, s25, v10, vcc_lo
	v_add_co_u32 v11, s2, v4, 2
	s_wait_alu 0xf1ff
	v_add_co_ci_u32_e64 v12, s2, 0, v9, s2
	v_sub_co_u32 v13, s2, v7, s24
	v_sub_co_ci_u32_e32 v8, vcc_lo, v6, v8, vcc_lo
	s_wait_alu 0xf1ff
	v_subrev_co_ci_u32_e64 v10, s2, 0, v10, s2
	s_delay_alu instid0(VALU_DEP_3) | instskip(NEXT) | instid1(VALU_DEP_3)
	v_cmp_le_u32_e32 vcc_lo, s24, v13
	v_cmp_eq_u32_e64 s2, s25, v8
	s_wait_alu 0xfffd
	v_cndmask_b32_e64 v13, 0, -1, vcc_lo
	v_cmp_le_u32_e32 vcc_lo, s25, v10
	s_wait_alu 0xfffd
	v_cndmask_b32_e64 v14, 0, -1, vcc_lo
	v_cmp_le_u32_e32 vcc_lo, s24, v7
	;; [unrolled: 3-line block ×3, first 2 shown]
	s_wait_alu 0xfffd
	v_cndmask_b32_e64 v15, 0, -1, vcc_lo
	v_cmp_eq_u32_e32 vcc_lo, s25, v10
	s_wait_alu 0xf1ff
	s_delay_alu instid0(VALU_DEP_2)
	v_cndmask_b32_e64 v7, v15, v7, s2
	s_wait_alu 0xfffd
	v_cndmask_b32_e32 v10, v14, v13, vcc_lo
	v_add_co_u32 v13, vcc_lo, v4, 1
	s_wait_alu 0xfffd
	v_add_co_ci_u32_e32 v14, vcc_lo, 0, v9, vcc_lo
	s_delay_alu instid0(VALU_DEP_3) | instskip(SKIP_1) | instid1(VALU_DEP_2)
	v_cmp_ne_u32_e32 vcc_lo, 0, v10
	s_wait_alu 0xfffd
	v_cndmask_b32_e32 v8, v14, v12, vcc_lo
	v_cndmask_b32_e32 v10, v13, v11, vcc_lo
	v_cmp_ne_u32_e32 vcc_lo, 0, v7
	s_wait_alu 0xfffd
	s_delay_alu instid0(VALU_DEP_2)
	v_dual_cndmask_b32 v121, v9, v8 :: v_dual_cndmask_b32 v120, v4, v10
.LBB0_4:                                ;   in Loop: Header=BB0_2 Depth=1
	s_wait_alu 0xfffe
	s_and_not1_saveexec_b32 s2, s26
	s_cbranch_execz .LBB0_6
; %bb.5:                                ;   in Loop: Header=BB0_2 Depth=1
	v_cvt_f32_u32_e32 v4, s24
	s_sub_co_i32 s26, 0, s24
	v_mov_b32_e32 v121, v3
	s_delay_alu instid0(VALU_DEP_2) | instskip(NEXT) | instid1(TRANS32_DEP_1)
	v_rcp_iflag_f32_e32 v4, v4
	v_mul_f32_e32 v4, 0x4f7ffffe, v4
	s_delay_alu instid0(VALU_DEP_1) | instskip(SKIP_1) | instid1(VALU_DEP_1)
	v_cvt_u32_f32_e32 v4, v4
	s_wait_alu 0xfffe
	v_mul_lo_u32 v7, s26, v4
	s_delay_alu instid0(VALU_DEP_1) | instskip(NEXT) | instid1(VALU_DEP_1)
	v_mul_hi_u32 v7, v4, v7
	v_add_nc_u32_e32 v4, v4, v7
	s_delay_alu instid0(VALU_DEP_1) | instskip(NEXT) | instid1(VALU_DEP_1)
	v_mul_hi_u32 v4, v5, v4
	v_mul_lo_u32 v7, v4, s24
	v_add_nc_u32_e32 v8, 1, v4
	s_delay_alu instid0(VALU_DEP_2) | instskip(NEXT) | instid1(VALU_DEP_1)
	v_sub_nc_u32_e32 v7, v5, v7
	v_subrev_nc_u32_e32 v9, s24, v7
	v_cmp_le_u32_e32 vcc_lo, s24, v7
	s_wait_alu 0xfffd
	s_delay_alu instid0(VALU_DEP_2) | instskip(NEXT) | instid1(VALU_DEP_1)
	v_dual_cndmask_b32 v7, v7, v9 :: v_dual_cndmask_b32 v4, v4, v8
	v_cmp_le_u32_e32 vcc_lo, s24, v7
	s_delay_alu instid0(VALU_DEP_2) | instskip(SKIP_1) | instid1(VALU_DEP_1)
	v_add_nc_u32_e32 v8, 1, v4
	s_wait_alu 0xfffd
	v_cndmask_b32_e32 v120, v4, v8, vcc_lo
.LBB0_6:                                ;   in Loop: Header=BB0_2 Depth=1
	s_wait_alu 0xfffe
	s_or_b32 exec_lo, exec_lo, s2
	v_mul_lo_u32 v4, v121, s24
	s_delay_alu instid0(VALU_DEP_2)
	v_mul_lo_u32 v9, v120, s25
	s_load_b64 s[26:27], s[18:19], 0x0
	v_mad_co_u64_u32 v[7:8], null, v120, s24, 0
	s_load_b64 s[24:25], s[16:17], 0x0
	s_add_nc_u64 s[20:21], s[20:21], 1
	s_add_nc_u64 s[16:17], s[16:17], 8
	s_wait_alu 0xfffe
	v_cmp_ge_u64_e64 s2, s[20:21], s[10:11]
	s_add_nc_u64 s[18:19], s[18:19], 8
	s_add_nc_u64 s[22:23], s[22:23], 8
	v_add3_u32 v4, v8, v9, v4
	v_sub_co_u32 v5, vcc_lo, v5, v7
	s_wait_alu 0xfffd
	s_delay_alu instid0(VALU_DEP_2) | instskip(SKIP_2) | instid1(VALU_DEP_1)
	v_sub_co_ci_u32_e32 v4, vcc_lo, v6, v4, vcc_lo
	s_and_b32 vcc_lo, exec_lo, s2
	s_wait_kmcnt 0x0
	v_mul_lo_u32 v6, s26, v4
	v_mul_lo_u32 v7, s27, v5
	v_mad_co_u64_u32 v[1:2], null, s26, v5, v[1:2]
	v_mul_lo_u32 v4, s24, v4
	v_mul_lo_u32 v8, s25, v5
	v_mad_co_u64_u32 v[118:119], null, s24, v5, v[118:119]
	s_delay_alu instid0(VALU_DEP_4) | instskip(NEXT) | instid1(VALU_DEP_2)
	v_add3_u32 v2, v7, v2, v6
	v_add3_u32 v119, v8, v119, v4
	s_wait_alu 0xfffe
	s_cbranch_vccnz .LBB0_9
; %bb.7:                                ;   in Loop: Header=BB0_2 Depth=1
	v_dual_mov_b32 v5, v120 :: v_dual_mov_b32 v6, v121
	s_branch .LBB0_2
.LBB0_8:
	v_dual_mov_b32 v119, v2 :: v_dual_mov_b32 v118, v1
	v_dual_mov_b32 v121, v6 :: v_dual_mov_b32 v120, v5
.LBB0_9:
	s_load_b64 s[0:1], s[0:1], 0x28
	v_mul_hi_u32 v3, 0x1e573ad, v0
	s_lshl_b64 s[10:11], s[10:11], 3
                                        ; implicit-def: $vgpr116
	s_wait_alu 0xfffe
	s_add_nc_u64 s[2:3], s[14:15], s[10:11]
	s_wait_kmcnt 0x0
	v_cmp_gt_u64_e32 vcc_lo, s[0:1], v[120:121]
	v_cmp_le_u64_e64 s0, s[0:1], v[120:121]
	s_delay_alu instid0(VALU_DEP_1)
	s_and_saveexec_b32 s1, s0
	s_wait_alu 0xfffe
	s_xor_b32 s0, exec_lo, s1
; %bb.10:
	v_mul_u32_u24_e32 v1, 0x87, v3
                                        ; implicit-def: $vgpr3
	s_delay_alu instid0(VALU_DEP_1)
	v_sub_nc_u32_e32 v116, v0, v1
                                        ; implicit-def: $vgpr0
                                        ; implicit-def: $vgpr1_vgpr2
; %bb.11:
	s_wait_alu 0xfffe
	s_or_saveexec_b32 s1, s0
	s_load_b64 s[2:3], s[2:3], 0x0
	s_xor_b32 exec_lo, exec_lo, s1
	s_cbranch_execz .LBB0_15
; %bb.12:
	s_add_nc_u64 s[10:11], s[12:13], s[10:11]
	v_lshlrev_b64_e32 v[1:2], 4, v[1:2]
	s_load_b64 s[10:11], s[10:11], 0x0
	s_wait_kmcnt 0x0
	v_mul_lo_u32 v6, s11, v120
	v_mul_lo_u32 v7, s10, v121
	v_mad_co_u64_u32 v[4:5], null, s10, v120, 0
	s_delay_alu instid0(VALU_DEP_1) | instskip(SKIP_1) | instid1(VALU_DEP_2)
	v_add3_u32 v5, v5, v7, v6
	v_mul_u32_u24_e32 v6, 0x87, v3
	v_lshlrev_b64_e32 v[3:4], 4, v[4:5]
	s_delay_alu instid0(VALU_DEP_2) | instskip(NEXT) | instid1(VALU_DEP_1)
	v_sub_nc_u32_e32 v116, v0, v6
	v_lshlrev_b32_e32 v117, 4, v116
	s_delay_alu instid0(VALU_DEP_3) | instskip(SKIP_1) | instid1(VALU_DEP_4)
	v_add_co_u32 v0, s0, s4, v3
	s_wait_alu 0xf1ff
	v_add_co_ci_u32_e64 v3, s0, s5, v4, s0
	s_delay_alu instid0(VALU_DEP_2) | instskip(SKIP_1) | instid1(VALU_DEP_2)
	v_add_co_u32 v0, s0, v0, v1
	s_wait_alu 0xf1ff
	v_add_co_ci_u32_e64 v1, s0, v3, v2, s0
	s_delay_alu instid0(VALU_DEP_2) | instskip(SKIP_1) | instid1(VALU_DEP_2)
	v_add_co_u32 v114, s0, v0, v117
	s_wait_alu 0xf1ff
	v_add_co_ci_u32_e64 v115, s0, 0, v1, s0
	s_clause 0x1d
	global_load_b128 v[2:5], v[114:115], off
	global_load_b128 v[6:9], v[114:115], off offset:2160
	global_load_b128 v[10:13], v[114:115], off offset:4320
	global_load_b128 v[14:17], v[114:115], off offset:6480
	global_load_b128 v[18:21], v[114:115], off offset:8640
	global_load_b128 v[22:25], v[114:115], off offset:10800
	global_load_b128 v[26:29], v[114:115], off offset:12960
	global_load_b128 v[30:33], v[114:115], off offset:15120
	global_load_b128 v[34:37], v[114:115], off offset:17280
	global_load_b128 v[38:41], v[114:115], off offset:19440
	global_load_b128 v[42:45], v[114:115], off offset:21600
	global_load_b128 v[46:49], v[114:115], off offset:23760
	global_load_b128 v[50:53], v[114:115], off offset:25920
	global_load_b128 v[54:57], v[114:115], off offset:28080
	global_load_b128 v[58:61], v[114:115], off offset:30240
	global_load_b128 v[62:65], v[114:115], off offset:32400
	global_load_b128 v[66:69], v[114:115], off offset:34560
	global_load_b128 v[70:73], v[114:115], off offset:36720
	global_load_b128 v[74:77], v[114:115], off offset:38880
	global_load_b128 v[78:81], v[114:115], off offset:41040
	global_load_b128 v[82:85], v[114:115], off offset:43200
	global_load_b128 v[86:89], v[114:115], off offset:45360
	global_load_b128 v[90:93], v[114:115], off offset:47520
	global_load_b128 v[94:97], v[114:115], off offset:49680
	global_load_b128 v[98:101], v[114:115], off offset:51840
	global_load_b128 v[102:105], v[114:115], off offset:54000
	global_load_b128 v[106:109], v[114:115], off offset:56160
	global_load_b128 v[110:113], v[114:115], off offset:58320
	global_load_b128 v[122:125], v[114:115], off offset:60480
	global_load_b128 v[126:129], v[114:115], off offset:62640
	v_add_nc_u32_e32 v114, 0, v117
	v_cmp_eq_u32_e64 s0, 0x86, v116
	s_wait_loadcnt 0x1d
	ds_store_b128 v114, v[2:5]
	s_wait_loadcnt 0x1c
	ds_store_b128 v114, v[6:9] offset:2160
	s_wait_loadcnt 0x1b
	ds_store_b128 v114, v[10:13] offset:4320
	;; [unrolled: 2-line block ×29, first 2 shown]
	s_and_saveexec_b32 s4, s0
	s_cbranch_execz .LBB0_14
; %bb.13:
	global_load_b128 v[0:3], v[0:1], off offset:64800
	v_mov_b32_e32 v4, 0
	v_mov_b32_e32 v116, 0x86
	s_wait_loadcnt 0x0
	ds_store_b128 v4, v[0:3] offset:64800
.LBB0_14:
	s_wait_alu 0xfffe
	s_or_b32 exec_lo, exec_lo, s4
.LBB0_15:
	s_delay_alu instid0(SALU_CYCLE_1)
	s_or_b32 exec_lo, exec_lo, s1
	v_lshlrev_b32_e32 v0, 4, v116
	global_wb scope:SCOPE_SE
	s_wait_dscnt 0x0
	s_wait_kmcnt 0x0
	s_barrier_signal -1
	s_barrier_wait -1
	global_inv scope:SCOPE_SE
	v_add_nc_u32_e32 v238, 0, v0
	v_sub_nc_u32_e32 v10, 0, v0
	s_mov_b32 s1, exec_lo
                                        ; implicit-def: $vgpr4_vgpr5
	ds_load_b64 v[6:7], v238
	ds_load_b64 v[8:9], v10 offset:64800
	s_wait_dscnt 0x0
	v_add_f64_e32 v[0:1], v[6:7], v[8:9]
	v_add_f64_e64 v[2:3], v[6:7], -v[8:9]
	v_cmpx_ne_u32_e32 0, v116
	s_wait_alu 0xfffe
	s_xor_b32 s1, exec_lo, s1
	s_cbranch_execz .LBB0_17
; %bb.16:
	v_mov_b32_e32 v117, 0
	v_add_f64_e32 v[13:14], v[6:7], v[8:9]
	v_add_f64_e64 v[15:16], v[6:7], -v[8:9]
	s_delay_alu instid0(VALU_DEP_3) | instskip(NEXT) | instid1(VALU_DEP_1)
	v_lshlrev_b64_e32 v[0:1], 4, v[116:117]
	v_add_co_u32 v0, s0, s8, v0
	s_wait_alu 0xf1ff
	s_delay_alu instid0(VALU_DEP_2)
	v_add_co_ci_u32_e64 v1, s0, s9, v1, s0
	global_load_b128 v[2:5], v[0:1], off offset:64640
	ds_load_b64 v[0:1], v10 offset:64808
	ds_load_b64 v[11:12], v238 offset:8
	s_wait_dscnt 0x0
	v_add_f64_e32 v[6:7], v[0:1], v[11:12]
	v_add_f64_e64 v[0:1], v[11:12], -v[0:1]
	s_wait_loadcnt 0x0
	v_fma_f64 v[8:9], v[15:16], v[4:5], v[13:14]
	v_fma_f64 v[11:12], -v[15:16], v[4:5], v[13:14]
	s_delay_alu instid0(VALU_DEP_3) | instskip(SKIP_1) | instid1(VALU_DEP_4)
	v_fma_f64 v[13:14], v[6:7], v[4:5], -v[0:1]
	v_fma_f64 v[4:5], v[6:7], v[4:5], v[0:1]
	v_fma_f64 v[0:1], -v[6:7], v[2:3], v[8:9]
	s_delay_alu instid0(VALU_DEP_4) | instskip(NEXT) | instid1(VALU_DEP_4)
	v_fma_f64 v[6:7], v[6:7], v[2:3], v[11:12]
	v_fma_f64 v[8:9], v[15:16], v[2:3], v[13:14]
	s_delay_alu instid0(VALU_DEP_4)
	v_fma_f64 v[2:3], v[15:16], v[2:3], v[4:5]
	v_dual_mov_b32 v4, v116 :: v_dual_mov_b32 v5, v117
	ds_store_b128 v10, v[6:9] offset:64800
.LBB0_17:
	s_wait_alu 0xfffe
	s_and_not1_saveexec_b32 s0, s1
	s_cbranch_execz .LBB0_19
; %bb.18:
	v_mov_b32_e32 v8, 0
	ds_load_b128 v[4:7], v8 offset:32400
	s_wait_dscnt 0x0
	v_add_f64_e32 v[11:12], v[4:5], v[4:5]
	v_mul_f64_e32 v[13:14], -2.0, v[6:7]
	v_mov_b32_e32 v4, 0
	v_mov_b32_e32 v5, 0
	ds_store_b128 v8, v[11:14] offset:32400
.LBB0_19:
	s_wait_alu 0xfffe
	s_or_b32 exec_lo, exec_lo, s0
	v_lshlrev_b64_e32 v[4:5], 4, v[4:5]
	s_add_nc_u64 s[0:1], s[8:9], 0xfc80
	v_add_nc_u32_e32 v255, 0x87, v116
	s_mov_b32 s10, 0x134454ff
	s_mov_b32 s11, 0x3fee6f0e
	s_mov_b32 s13, 0xbfee6f0e
	s_wait_alu 0xfffe
	v_add_co_u32 v4, s0, s0, v4
	s_wait_alu 0xf1ff
	v_add_co_ci_u32_e64 v5, s0, s1, v5, s0
	v_and_b32_e32 v117, 0xffff, v255
	s_mov_b32 s12, s10
	s_mov_b32 s0, 0x4755a5e
	s_clause 0x1
	global_load_b128 v[6:9], v[4:5], off offset:2160
	global_load_b128 v[11:14], v[4:5], off offset:4320
	ds_store_b128 v238, v[0:3]
	ds_load_b128 v[0:3], v238 offset:2160
	ds_load_b128 v[15:18], v10 offset:62640
	global_load_b128 v[19:22], v[4:5], off offset:6480
	v_mul_u32_u24_e32 v117, 0xcccd, v117
	s_mov_b32 s1, 0x3fe2cf23
	s_mov_b32 s15, 0xbfe2cf23
	s_wait_alu 0xfffe
	s_mov_b32 s14, s0
	s_mov_b32 s4, 0x372fe950
	;; [unrolled: 1-line block ×5, first 2 shown]
	s_wait_dscnt 0x0
	v_add_f64_e32 v[23:24], v[0:1], v[15:16]
	v_add_f64_e32 v[25:26], v[17:18], v[2:3]
	v_add_f64_e64 v[27:28], v[0:1], -v[15:16]
	v_add_f64_e64 v[0:1], v[2:3], -v[17:18]
	s_wait_loadcnt 0x2
	s_delay_alu instid0(VALU_DEP_2) | instskip(NEXT) | instid1(VALU_DEP_2)
	v_fma_f64 v[2:3], v[27:28], v[8:9], v[23:24]
	v_fma_f64 v[15:16], v[25:26], v[8:9], v[0:1]
	v_fma_f64 v[17:18], -v[27:28], v[8:9], v[23:24]
	v_fma_f64 v[8:9], v[25:26], v[8:9], -v[0:1]
	s_delay_alu instid0(VALU_DEP_4) | instskip(NEXT) | instid1(VALU_DEP_4)
	v_fma_f64 v[0:1], -v[25:26], v[6:7], v[2:3]
	v_fma_f64 v[2:3], v[27:28], v[6:7], v[15:16]
	s_delay_alu instid0(VALU_DEP_4) | instskip(NEXT) | instid1(VALU_DEP_4)
	v_fma_f64 v[15:16], v[25:26], v[6:7], v[17:18]
	v_fma_f64 v[17:18], v[27:28], v[6:7], v[8:9]
	ds_store_b128 v238, v[0:3] offset:2160
	ds_store_b128 v10, v[15:18] offset:62640
	ds_load_b128 v[0:3], v238 offset:4320
	ds_load_b128 v[6:9], v10 offset:60480
	global_load_b128 v[15:18], v[4:5], off offset:8640
	s_wait_dscnt 0x0
	v_add_f64_e32 v[23:24], v[0:1], v[6:7]
	v_add_f64_e32 v[25:26], v[8:9], v[2:3]
	v_add_f64_e64 v[27:28], v[0:1], -v[6:7]
	v_add_f64_e64 v[0:1], v[2:3], -v[8:9]
	s_wait_loadcnt 0x2
	s_delay_alu instid0(VALU_DEP_2) | instskip(NEXT) | instid1(VALU_DEP_2)
	v_fma_f64 v[2:3], v[27:28], v[13:14], v[23:24]
	v_fma_f64 v[6:7], v[25:26], v[13:14], v[0:1]
	v_fma_f64 v[8:9], -v[27:28], v[13:14], v[23:24]
	v_fma_f64 v[13:14], v[25:26], v[13:14], -v[0:1]
	s_delay_alu instid0(VALU_DEP_4) | instskip(NEXT) | instid1(VALU_DEP_4)
	v_fma_f64 v[0:1], -v[25:26], v[11:12], v[2:3]
	v_fma_f64 v[2:3], v[27:28], v[11:12], v[6:7]
	s_delay_alu instid0(VALU_DEP_4) | instskip(NEXT) | instid1(VALU_DEP_4)
	v_fma_f64 v[6:7], v[25:26], v[11:12], v[8:9]
	v_fma_f64 v[8:9], v[27:28], v[11:12], v[13:14]
	ds_store_b128 v238, v[0:3] offset:4320
	ds_store_b128 v10, v[6:9] offset:60480
	ds_load_b128 v[0:3], v238 offset:6480
	ds_load_b128 v[6:9], v10 offset:58320
	global_load_b128 v[11:14], v[4:5], off offset:10800
	;; [unrolled: 22-line block ×11, first 2 shown]
	s_wait_dscnt 0x0
	v_add_f64_e32 v[4:5], v[0:1], v[6:7]
	v_add_f64_e32 v[23:24], v[8:9], v[2:3]
	v_add_f64_e64 v[6:7], v[0:1], -v[6:7]
	v_add_f64_e64 v[0:1], v[2:3], -v[8:9]
	s_wait_loadcnt 0x2
	s_delay_alu instid0(VALU_DEP_2) | instskip(NEXT) | instid1(VALU_DEP_2)
	v_fma_f64 v[2:3], v[6:7], v[21:22], v[4:5]
	v_fma_f64 v[8:9], v[23:24], v[21:22], v[0:1]
	v_fma_f64 v[4:5], -v[6:7], v[21:22], v[4:5]
	v_fma_f64 v[21:22], v[23:24], v[21:22], -v[0:1]
	s_delay_alu instid0(VALU_DEP_4) | instskip(NEXT) | instid1(VALU_DEP_4)
	v_fma_f64 v[0:1], -v[23:24], v[19:20], v[2:3]
	v_fma_f64 v[2:3], v[6:7], v[19:20], v[8:9]
	s_delay_alu instid0(VALU_DEP_4) | instskip(NEXT) | instid1(VALU_DEP_4)
	v_fma_f64 v[4:5], v[23:24], v[19:20], v[4:5]
	v_fma_f64 v[6:7], v[6:7], v[19:20], v[21:22]
	ds_store_b128 v238, v[0:3] offset:25920
	ds_store_b128 v10, v[4:7] offset:38880
	ds_load_b128 v[0:3], v238 offset:28080
	ds_load_b128 v[4:7], v10 offset:36720
	s_wait_dscnt 0x0
	v_add_f64_e32 v[8:9], v[0:1], v[4:5]
	v_add_f64_e32 v[19:20], v[6:7], v[2:3]
	v_add_f64_e64 v[21:22], v[0:1], -v[4:5]
	v_add_f64_e64 v[0:1], v[2:3], -v[6:7]
	s_wait_loadcnt 0x1
	s_delay_alu instid0(VALU_DEP_2) | instskip(NEXT) | instid1(VALU_DEP_2)
	v_fma_f64 v[2:3], v[21:22], v[17:18], v[8:9]
	v_fma_f64 v[4:5], v[19:20], v[17:18], v[0:1]
	v_fma_f64 v[6:7], -v[21:22], v[17:18], v[8:9]
	v_fma_f64 v[8:9], v[19:20], v[17:18], -v[0:1]
	s_delay_alu instid0(VALU_DEP_4) | instskip(NEXT) | instid1(VALU_DEP_4)
	v_fma_f64 v[0:1], -v[19:20], v[15:16], v[2:3]
	v_fma_f64 v[2:3], v[21:22], v[15:16], v[4:5]
	s_delay_alu instid0(VALU_DEP_4) | instskip(NEXT) | instid1(VALU_DEP_4)
	v_fma_f64 v[4:5], v[19:20], v[15:16], v[6:7]
	v_fma_f64 v[6:7], v[21:22], v[15:16], v[8:9]
	ds_store_b128 v238, v[0:3] offset:28080
	ds_store_b128 v10, v[4:7] offset:36720
	ds_load_b128 v[0:3], v238 offset:30240
	ds_load_b128 v[4:7], v10 offset:34560
	s_wait_dscnt 0x0
	v_add_f64_e32 v[8:9], v[0:1], v[4:5]
	v_add_f64_e32 v[15:16], v[6:7], v[2:3]
	v_add_f64_e64 v[17:18], v[0:1], -v[4:5]
	v_add_f64_e64 v[0:1], v[2:3], -v[6:7]
	s_wait_loadcnt 0x0
	s_delay_alu instid0(VALU_DEP_2) | instskip(NEXT) | instid1(VALU_DEP_2)
	v_fma_f64 v[2:3], v[17:18], v[13:14], v[8:9]
	v_fma_f64 v[4:5], v[15:16], v[13:14], v[0:1]
	v_fma_f64 v[6:7], -v[17:18], v[13:14], v[8:9]
	v_fma_f64 v[8:9], v[15:16], v[13:14], -v[0:1]
	s_delay_alu instid0(VALU_DEP_4) | instskip(NEXT) | instid1(VALU_DEP_4)
	v_fma_f64 v[0:1], -v[15:16], v[11:12], v[2:3]
	v_fma_f64 v[2:3], v[17:18], v[11:12], v[4:5]
	s_delay_alu instid0(VALU_DEP_4) | instskip(NEXT) | instid1(VALU_DEP_4)
	v_fma_f64 v[4:5], v[15:16], v[11:12], v[6:7]
	v_fma_f64 v[6:7], v[17:18], v[11:12], v[8:9]
	ds_store_b128 v238, v[0:3] offset:30240
	ds_store_b128 v10, v[4:7] offset:34560
	global_wb scope:SCOPE_SE
	s_wait_dscnt 0x0
	s_barrier_signal -1
	s_barrier_wait -1
	global_inv scope:SCOPE_SE
	global_wb scope:SCOPE_SE
	s_barrier_signal -1
	s_barrier_wait -1
	global_inv scope:SCOPE_SE
	ds_load_b128 v[48:51], v238
	ds_load_b128 v[52:55], v238 offset:2160
	ds_load_b128 v[80:83], v238 offset:12960
	;; [unrolled: 1-line block ×29, first 2 shown]
	s_wait_dscnt 0x1b
	v_add_f64_e32 v[112:113], v[48:49], v[80:81]
	v_add_f64_e32 v[114:115], v[50:51], v[82:83]
	s_wait_dscnt 0x11
	v_add_f64_e32 v[126:127], v[64:65], v[108:109]
	v_add_f64_e32 v[130:131], v[84:85], v[8:9]
	v_add_f64_e64 v[92:93], v[86:87], -v[10:11]
	v_add_f64_e64 v[170:171], v[80:81], -v[84:85]
	v_add_f64_e32 v[132:133], v[80:81], v[4:5]
	v_add_f64_e64 v[214:215], v[84:85], -v[80:81]
	v_add_f64_e32 v[134:135], v[86:87], v[10:11]
	v_add_f64_e64 v[96:97], v[80:81], -v[4:5]
	v_add_f64_e64 v[80:81], v[84:85], -v[8:9]
	;; [unrolled: 1-line block ×4, first 2 shown]
	v_add_f64_e32 v[136:137], v[82:83], v[6:7]
	v_add_f64_e32 v[174:175], v[78:79], v[2:3]
	s_wait_dscnt 0x7
	v_add_f64_e32 v[180:181], v[152:153], v[124:125]
	s_wait_dscnt 0x3
	v_add_f64_e32 v[182:183], v[158:159], v[44:45]
	v_add_f64_e32 v[194:195], v[56:57], v[60:61]
	;; [unrolled: 1-line block ×5, first 2 shown]
	v_add_f64_e64 v[234:235], v[110:111], -v[90:91]
	v_add_f64_e64 v[236:237], v[90:91], -v[110:111]
	;; [unrolled: 1-line block ×3, first 2 shown]
	v_add_f64_e32 v[140:141], v[52:53], v[76:77]
	v_add_f64_e32 v[110:111], v[110:111], v[22:23]
	;; [unrolled: 1-line block ×8, first 2 shown]
	v_add_f64_e64 v[226:227], v[6:7], -v[10:11]
	v_add_f64_e32 v[144:145], v[54:55], v[78:79]
	v_add_f64_e64 v[230:231], v[108:109], -v[88:89]
	v_add_f64_e64 v[232:233], v[88:89], -v[108:109]
	;; [unrolled: 1-line block ×3, first 2 shown]
	v_add_f64_e32 v[146:147], v[108:109], v[20:21]
	v_add_f64_e32 v[84:85], v[112:113], v[84:85]
	;; [unrolled: 1-line block ×6, first 2 shown]
	v_add_f64_e64 v[188:189], v[78:79], -v[70:71]
	v_add_f64_e64 v[210:211], v[70:71], -v[78:79]
	;; [unrolled: 1-line block ×4, first 2 shown]
	s_wait_dscnt 0x1
	v_add_f64_e32 v[190:191], v[122:123], v[36:37]
	v_add_f64_e32 v[192:193], v[124:125], v[38:39]
	;; [unrolled: 1-line block ×6, first 2 shown]
	v_fma_f64 v[126:127], v[132:133], -0.5, v[48:49]
	v_add_f64_e64 v[132:133], v[124:125], -v[160:161]
	v_add_f64_e64 v[176:177], v[4:5], -v[8:9]
	;; [unrolled: 1-line block ×10, first 2 shown]
	v_add_f64_e32 v[90:91], v[128:129], v[90:91]
	v_add_f64_e32 v[249:250], v[200:201], v[42:43]
	;; [unrolled: 1-line block ×3, first 2 shown]
	s_wait_dscnt 0x0
	v_add_f64_e32 v[68:69], v[168:169], v[34:35]
	v_fma_f64 v[112:113], v[134:135], -0.5, v[50:51]
	v_fma_f64 v[140:141], v[138:139], -0.5, v[64:65]
	;; [unrolled: 1-line block ×5, first 2 shown]
	v_add_f64_e32 v[172:173], v[178:179], v[158:159]
	v_fma_f64 v[110:111], v[196:197], -0.5, v[56:57]
	v_fma_f64 v[128:129], v[204:205], -0.5, v[56:57]
	scratch_store_b64 off, v[84:85], off    ; 8-byte Folded Spill
	v_fma_f64 v[84:85], v[130:131], -0.5, v[48:49]
	v_fma_f64 v[130:131], v[136:137], -0.5, v[50:51]
	v_add_f64_e64 v[48:49], v[160:161], -v[124:125]
	v_fma_f64 v[136:137], v[174:175], -0.5, v[54:55]
	v_add_f64_e32 v[174:175], v[180:181], v[160:161]
	v_fma_f64 v[160:161], v[182:183], -0.5, v[150:151]
	v_add_f64_e32 v[182:183], v[194:195], v[72:73]
	v_add_f64_e32 v[194:195], v[114:115], v[200:201]
	v_add_f64_e64 v[114:115], v[28:29], -v[20:21]
	v_add_f64_e64 v[50:51], v[158:159], -v[44:45]
	v_fma_f64 v[158:159], v[184:185], -0.5, v[152:153]
	v_add_f64_e64 v[56:57], v[200:201], -v[42:43]
	v_add_f64_e32 v[184:185], v[202:203], v[74:75]
	v_add_f64_e64 v[204:205], v[168:169], -v[200:201]
	v_add_f64_e64 v[202:203], v[200:201], -v[168:169]
	;; [unrolled: 1-line block ×6, first 2 shown]
	v_add_f64_e32 v[144:145], v[144:145], v[70:71]
	v_add_f64_e64 v[70:71], v[74:75], -v[26:27]
	v_add_f64_e64 v[208:209], v[62:63], -v[74:75]
	;; [unrolled: 1-line block ×3, first 2 shown]
	v_add_f64_e32 v[74:75], v[222:223], v[226:227]
	v_add_f64_e64 v[222:223], v[2:3], -v[14:15]
	v_add_f64_e32 v[247:248], v[198:199], v[40:41]
	v_fma_f64 v[146:147], v[146:147], -0.5, v[64:65]
	v_add_f64_e64 v[64:65], v[124:125], -v[38:39]
	v_add_f64_e64 v[66:67], v[122:123], -v[36:37]
	v_fma_f64 v[122:123], v[162:163], -0.5, v[52:53]
	v_fma_f64 v[124:125], v[164:165], -0.5, v[54:55]
	;; [unrolled: 1-line block ×6, first 2 shown]
	v_add_f64_e64 v[196:197], v[166:167], -v[198:199]
	v_add_f64_e64 v[192:193], v[198:199], -v[166:167]
	;; [unrolled: 1-line block ×3, first 2 shown]
	v_add_f64_e32 v[190:191], v[253:254], v[198:199]
	v_add_f64_e32 v[251:252], v[166:167], v[32:33]
	v_add_f64_e64 v[216:217], v[60:61], -v[72:73]
	v_add_f64_e64 v[178:179], v[72:73], -v[60:61]
	;; [unrolled: 1-line block ×3, first 2 shown]
	v_fma_f64 v[150:151], v[249:250], -0.5, v[156:157]
	v_fma_f64 v[156:157], v[68:69], -0.5, v[156:157]
	v_add_f64_e64 v[68:69], v[166:167], -v[32:33]
	v_add_f64_e32 v[198:199], v[232:233], v[114:115]
	v_add_f64_e64 v[114:115], v[44:45], -v[36:37]
	v_add_f64_e32 v[72:73], v[170:171], v[176:177]
	v_add_f64_e32 v[166:167], v[234:235], v[241:242]
	;; [unrolled: 1-line block ×3, first 2 shown]
	v_add_f64_e64 v[220:221], v[12:13], -v[0:1]
	v_add_f64_e64 v[234:235], v[46:47], -v[38:39]
	v_add_f64_e32 v[200:201], v[236:237], v[200:201]
	v_add_f64_e64 v[236:237], v[16:17], -v[24:25]
	v_add_f64_e32 v[176:177], v[230:231], v[239:240]
	v_add_f64_e64 v[226:227], v[36:37], -v[44:45]
	v_add_f64_e64 v[230:231], v[38:39], -v[46:47]
	;; [unrolled: 1-line block ×3, first 2 shown]
	v_and_b32_e32 v239, 0xff, v116
	v_add_f64_e64 v[228:229], v[10:11], -v[6:7]
	v_add_f64_e64 v[54:55], v[60:61], -v[16:17]
	v_add_f64_e32 v[188:189], v[188:189], v[222:223]
	v_add_f64_e64 v[222:223], v[32:33], -v[40:41]
	v_add_f64_e64 v[60:61], v[168:169], -v[34:35]
	;; [unrolled: 1-line block ×3, first 2 shown]
	v_fma_f64 v[152:153], v[247:248], -0.5, v[154:155]
	v_add_f64_e64 v[247:248], v[0:1], -v[12:13]
	v_add_f64_e32 v[30:31], v[90:91], v[30:31]
	v_add_f64_e32 v[12:13], v[142:143], v[12:13]
	v_add_f64_e64 v[76:77], v[76:77], -v[0:1]
	v_add_f64_e32 v[10:11], v[86:87], v[10:11]
	v_fma_f64 v[86:87], v[104:105], s[10:11], v[140:141]
	v_add_f64_e32 v[28:29], v[88:89], v[28:29]
	v_add_f64_e32 v[44:45], v[172:173], v[44:45]
	;; [unrolled: 1-line block ×3, first 2 shown]
	v_fma_f64 v[172:173], v[98:99], s[12:13], v[146:147]
	v_fma_f64 v[154:155], v[251:252], -0.5, v[154:155]
	v_fma_f64 v[146:147], v[98:99], s[10:11], v[146:147]
	v_fma_f64 v[90:91], v[94:95], s[10:11], v[84:85]
	;; [unrolled: 1-line block ×4, first 2 shown]
	v_add_f64_e64 v[62:63], v[62:63], -v[18:19]
	v_fma_f64 v[142:143], v[96:97], s[12:13], v[112:113]
	v_fma_f64 v[112:113], v[96:97], s[10:11], v[112:113]
	v_add_f64_e32 v[218:219], v[218:219], v[114:115]
	v_mul_lo_u16 v114, 0xcd, v239
	v_fma_f64 v[174:175], v[92:93], s[12:13], v[126:127]
	v_fma_f64 v[126:127], v[92:93], s[10:11], v[126:127]
	v_add_f64_e32 v[206:207], v[206:207], v[220:221]
	v_add_f64_e32 v[220:221], v[48:49], v[234:235]
	v_add_f64_e64 v[234:235], v[42:43], -v[34:35]
	v_add_f64_e32 v[48:49], v[216:217], v[236:237]
	v_lshrrev_b16 v217, 11, v114
	v_add_f64_e32 v[214:215], v[212:213], v[226:227]
	v_add_f64_e32 v[212:213], v[132:133], v[230:231]
	;; [unrolled: 1-line block ×3, first 2 shown]
	v_mul_u32_u24_e32 v236, 10, v116
	v_mul_lo_u16 v132, v217, 10
	v_add_f64_e32 v[168:169], v[224:225], v[228:229]
	v_add_f64_e64 v[228:229], v[14:15], -v[2:3]
	v_add_f64_e64 v[224:225], v[34:35], -v[42:43]
	v_add_f64_e64 v[230:231], v[40:41], -v[32:33]
	v_sub_nc_u16 v208, v116, v132
	v_add_f64_e32 v[132:133], v[196:197], v[222:223]
	v_mov_b32_e32 v237, v116
	v_lshrrev_b32_e32 v197, 19, v117
	scratch_load_b64 v[116:117], off, off th:TH_LOAD_LU ; 8-byte Folded Reload
	v_and_b32_e32 v196, 0xff, v208
	v_add_f64_e64 v[226:227], v[24:25], -v[16:17]
	v_add_f64_e32 v[24:25], v[182:183], v[24:25]
	v_add_f64_e32 v[14:15], v[144:145], v[14:15]
	;; [unrolled: 1-line block ×3, first 2 shown]
	v_fma_f64 v[88:89], v[108:109], s[12:13], v[138:139]
	v_fma_f64 v[144:145], v[100:101], s[10:11], v[148:149]
	;; [unrolled: 1-line block ×3, first 2 shown]
	v_add_f64_e32 v[42:43], v[194:195], v[42:43]
	v_fma_f64 v[138:139], v[108:109], s[10:11], v[138:139]
	v_fma_f64 v[222:223], v[50:51], s[10:11], v[164:165]
	;; [unrolled: 1-line block ×7, first 2 shown]
	v_add_f64_e32 v[22:23], v[30:31], v[22:23]
	v_fma_f64 v[30:31], v[58:59], s[10:11], v[156:157]
	v_add_f64_e32 v[12:13], v[12:13], v[0:1]
	v_fma_f64 v[0:1], v[56:57], s[12:13], v[154:155]
	v_fma_f64 v[154:155], v[56:57], s[10:11], v[154:155]
	;; [unrolled: 1-line block ×7, first 2 shown]
	v_add_f64_e32 v[38:39], v[46:47], v[38:39]
	v_fma_f64 v[46:47], v[70:71], s[10:11], v[128:129]
	v_fma_f64 v[84:85], v[92:93], s[14:15], v[84:85]
	v_add_f64_e32 v[6:7], v[10:11], v[6:7]
	v_add_f64_e32 v[210:211], v[210:211], v[228:229]
	v_add_f64_e64 v[228:229], v[26:27], -v[18:19]
	v_add_f64_e32 v[26:27], v[184:185], v[26:27]
	v_fma_f64 v[184:185], v[64:65], s[10:11], v[160:161]
	v_add_f64_e32 v[204:205], v[204:205], v[224:225]
	v_fma_f64 v[224:225], v[78:79], s[12:13], v[162:163]
	v_fma_f64 v[162:163], v[78:79], s[10:11], v[162:163]
	;; [unrolled: 1-line block ×3, first 2 shown]
	v_add_f64_e32 v[192:193], v[192:193], v[230:231]
	v_fma_f64 v[230:231], v[60:61], s[10:11], v[152:153]
	v_fma_f64 v[152:153], v[60:61], s[12:13], v[152:153]
	v_add_f64_e32 v[24:25], v[24:25], v[16:17]
	v_fma_f64 v[16:17], v[98:99], s[0:1], v[86:87]
	v_add_f64_e32 v[14:15], v[14:15], v[2:3]
	;; [unrolled: 2-line block ×3, first 2 shown]
	v_fma_f64 v[40:41], v[100:101], s[14:15], v[88:89]
	v_fma_f64 v[88:89], v[104:105], s[0:1], v[172:173]
	v_fma_f64 v[104:105], v[104:105], s[14:15], v[146:147]
	v_add_f64_e32 v[34:35], v[42:43], v[34:35]
	v_fma_f64 v[42:43], v[92:93], s[0:1], v[90:91]
	v_fma_f64 v[98:99], v[98:99], s[14:15], v[140:141]
	v_fma_f64 v[92:93], v[100:101], s[0:1], v[138:139]
	v_add_f64_e32 v[178:179], v[178:179], v[226:227]
	;; [unrolled: 4-line block ×3, first 2 shown]
	v_fma_f64 v[44:45], v[52:53], s[10:11], v[245:246]
	v_fma_f64 v[128:129], v[52:53], s[12:13], v[245:246]
	;; [unrolled: 1-line block ×11, first 2 shown]
	v_add_f64_e32 v[180:181], v[180:181], v[228:229]
	v_fma_f64 v[228:229], v[102:103], s[10:11], v[136:137]
	v_fma_f64 v[136:137], v[102:103], s[12:13], v[136:137]
	v_add_f64_e32 v[26:27], v[26:27], v[18:19]
	v_fma_f64 v[18:19], v[108:109], s[14:15], v[144:145]
	v_fma_f64 v[108:109], v[108:109], s[0:1], v[148:149]
	v_fma_f64 v[100:101], v[78:79], s[0:1], v[184:185]
	v_fma_f64 v[140:141], v[64:65], s[0:1], v[224:225]
	v_fma_f64 v[64:65], v[64:65], s[14:15], v[162:163]
	v_fma_f64 v[78:79], v[78:79], s[14:15], v[160:161]
	v_fma_f64 v[126:127], v[82:83], s[0:1], v[194:195]
	v_fma_f64 v[82:83], v[82:83], s[14:15], v[122:123]
	v_fma_f64 v[122:123], v[56:57], s[0:1], v[230:231]
	v_add_f64_e32 v[202:203], v[202:203], v[234:235]
	v_fma_f64 v[30:31], v[68:69], s[14:15], v[30:31]
	v_fma_f64 v[142:143], v[96:97], s[14:15], v[182:183]
	;; [unrolled: 1-line block ×6, first 2 shown]
	s_wait_alu 0xfffe
	v_fma_f64 v[148:149], v[176:177], s[4:5], v[16:17]
	v_add_f64_e32 v[20:21], v[28:29], v[20:21]
	v_fma_f64 v[46:47], v[62:63], s[14:15], v[46:47]
	v_fma_f64 v[88:89], v[198:199], s[4:5], v[88:89]
	;; [unrolled: 1-line block ×14, first 2 shown]
	v_add_f64_e32 v[186:187], v[186:187], v[247:248]
	v_add_f64_e32 v[10:11], v[14:15], v[38:39]
	v_add_f64_e64 v[14:15], v[14:15], -v[38:39]
	v_fma_f64 v[146:147], v[76:77], s[14:15], v[228:229]
	v_fma_f64 v[76:77], v[76:77], s[0:1], v[136:137]
	;; [unrolled: 1-line block ×10, first 2 shown]
	v_add_f64_e32 v[16:17], v[24:25], v[32:33]
	v_fma_f64 v[66:67], v[132:133], s[4:5], v[122:123]
	v_fma_f64 v[112:113], v[212:213], s[4:5], v[112:113]
	;; [unrolled: 1-line block ×8, first 2 shown]
	v_mul_f64_e32 v[122:123], s[16:17], v[148:149]
	v_mul_f64_e32 v[132:133], s[14:15], v[148:149]
	v_fma_f64 v[102:103], v[188:189], s[4:5], v[102:103]
	global_wb scope:SCOPE_SE
	s_wait_loadcnt 0x0
	s_wait_storecnt 0x0
	s_barrier_signal -1
	v_mul_f64_e32 v[138:139], s[16:17], v[98:99]
	v_mul_f64_e32 v[140:141], s[16:17], v[92:93]
	v_fma_f64 v[28:29], v[52:53], s[14:15], v[28:29]
	v_fma_f64 v[52:53], v[52:53], s[0:1], v[232:233]
	s_barrier_wait -1
	v_fma_f64 v[106:107], v[206:207], s[4:5], v[106:107]
	global_inv scope:SCOPE_SE
	v_and_b32_e32 v217, 0xffff, v217
	v_fma_f64 v[60:61], v[192:193], s[4:5], v[60:61]
	v_mul_f64_e32 v[148:149], s[12:13], v[128:129]
	v_mul_f64_e32 v[152:153], s[4:5], v[38:39]
	;; [unrolled: 1-line block ×5, first 2 shown]
	v_fma_f64 v[122:123], v[40:41], s[0:1], v[122:123]
	v_fma_f64 v[40:41], v[40:41], s[16:17], v[132:133]
	;; [unrolled: 1-line block ×5, first 2 shown]
	v_mul_f64_e32 v[164:165], s[4:5], v[60:61]
	v_add_f64_e32 v[8:9], v[116:117], v[8:9]
	v_lshl_add_u32 v117, v236, 4, 0
	s_delay_alu instid0(VALU_DEP_2)
	v_add_f64_e32 v[4:5], v[8:9], v[4:5]
	v_fma_f64 v[8:9], v[68:69], s[12:13], v[150:151]
	v_fma_f64 v[150:151], v[68:69], s[10:11], v[150:151]
	;; [unrolled: 1-line block ×3, first 2 shown]
	v_mul_f64_e32 v[156:157], s[16:17], v[50:51]
	v_add_f64_e32 v[0:1], v[4:5], v[20:21]
	v_fma_f64 v[124:125], v[58:59], s[14:15], v[8:9]
	v_fma_f64 v[58:59], v[58:59], s[0:1], v[150:151]
	;; [unrolled: 1-line block ×4, first 2 shown]
	v_add_f64_e32 v[8:9], v[12:13], v[36:37]
	v_add_f64_e64 v[12:13], v[12:13], -v[36:37]
	v_fma_f64 v[36:37], v[218:219], s[4:5], v[64:65]
	v_fma_f64 v[64:65], v[214:215], s[4:5], v[78:79]
	;; [unrolled: 1-line block ×4, first 2 shown]
	v_add_f64_e32 v[2:3], v[6:7], v[22:23]
	v_add_f64_e64 v[4:5], v[4:5], -v[20:21]
	v_add_f64_e64 v[6:7], v[6:7], -v[22:23]
	v_add_f64_e32 v[18:19], v[26:27], v[34:35]
	v_add_f64_e64 v[20:21], v[24:25], -v[32:33]
	v_add_f64_e64 v[22:23], v[26:27], -v[34:35]
	v_mul_f64_e32 v[26:27], s[12:13], v[88:89]
	v_fma_f64 v[32:33], v[72:73], s[4:5], v[42:43]
	v_fma_f64 v[34:35], v[74:75], s[4:5], v[86:87]
	v_mul_f64_e32 v[42:43], s[4:5], v[104:105]
	v_mul_f64_e32 v[86:87], s[4:5], v[108:109]
	v_fma_f64 v[136:137], v[168:169], s[4:5], v[142:143]
	v_mul_f64_e32 v[142:143], s[16:17], v[100:101]
	v_mul_f64_e32 v[100:101], s[14:15], v[100:101]
	v_fma_f64 v[72:73], v[72:73], s[4:5], v[84:85]
	v_mul_f64_e32 v[84:85], s[10:11], v[110:111]
	v_fma_f64 v[74:75], v[74:75], s[4:5], v[80:81]
	v_fma_f64 v[80:81], v[186:187], s[4:5], v[126:127]
	v_mul_f64_e32 v[168:169], s[16:17], v[56:57]
	v_fma_f64 v[110:111], v[110:111], s[4:5], v[148:149]
	v_fma_f64 v[148:149], v[48:49], s[4:5], v[70:71]
	;; [unrolled: 1-line block ×4, first 2 shown]
	v_mul_f64_e32 v[24:25], s[10:11], v[62:63]
	v_mul_f64_e32 v[126:127], s[4:5], v[36:37]
	;; [unrolled: 1-line block ×5, first 2 shown]
	v_fma_f64 v[62:63], v[62:63], s[4:5], v[26:27]
	v_add_f64_e32 v[26:27], v[34:35], v[40:41]
	v_fma_f64 v[76:77], v[108:109], s[10:11], -v[42:43]
	v_fma_f64 v[86:87], v[104:105], s[12:13], -v[86:87]
	v_fma_f64 v[104:105], v[186:187], s[4:5], v[82:83]
	v_fma_f64 v[82:83], v[92:93], s[0:1], -v[138:139]
	v_fma_f64 v[92:93], v[98:99], s[14:15], -v[140:141]
	v_fma_f64 v[98:99], v[48:49], s[4:5], v[134:135]
	v_fma_f64 v[134:135], v[112:113], s[0:1], v[142:143]
	;; [unrolled: 1-line block ×4, first 2 shown]
	v_fma_f64 v[142:143], v[36:37], s[12:13], -v[152:153]
	v_fma_f64 v[108:109], v[114:115], s[4:5], v[28:29]
	v_fma_f64 v[112:113], v[178:179], s[4:5], v[150:151]
	;; [unrolled: 1-line block ×3, first 2 shown]
	v_fma_f64 v[152:153], v[64:65], s[14:15], -v[156:157]
	v_fma_f64 v[138:139], v[180:181], s[4:5], v[44:45]
	v_fma_f64 v[156:157], v[78:79], s[4:5], v[160:161]
	;; [unrolled: 1-line block ×4, first 2 shown]
	v_fma_f64 v[160:161], v[68:69], s[10:11], -v[164:165]
	v_add_f64_e64 v[28:29], v[32:33], -v[122:123]
	v_mul_f64_e32 v[170:171], s[16:17], v[58:59]
	v_fma_f64 v[164:165], v[58:59], s[0:1], -v[168:169]
	v_fma_f64 v[88:89], v[88:89], s[4:5], v[24:25]
	v_add_f64_e32 v[24:25], v[32:33], v[122:123]
	v_add_f64_e64 v[70:71], v[144:145], -v[110:111]
	v_fma_f64 v[126:127], v[38:39], s[10:11], -v[126:127]
	v_fma_f64 v[114:115], v[50:51], s[0:1], -v[154:155]
	v_fma_f64 v[154:155], v[124:125], s[0:1], v[158:159]
	v_fma_f64 v[124:125], v[124:125], s[16:17], v[66:67]
	;; [unrolled: 1-line block ×3, first 2 shown]
	v_fma_f64 v[162:163], v[60:61], s[12:13], -v[166:167]
	v_add_f64_e64 v[30:31], v[34:35], -v[40:41]
	v_add_f64_e32 v[66:67], v[144:145], v[110:111]
	v_add_f64_e32 v[34:35], v[136:137], v[62:63]
	v_add_f64_e64 v[38:39], v[136:137], -v[62:63]
	v_add_f64_e32 v[40:41], v[94:95], v[76:77]
	v_add_f64_e32 v[42:43], v[96:97], v[86:87]
	;; [unrolled: 3-line block ×3, first 2 shown]
	v_add_f64_e64 v[46:47], v[96:97], -v[86:87]
	v_add_f64_e64 v[52:53], v[72:73], -v[82:83]
	;; [unrolled: 1-line block ×3, first 2 shown]
	v_add_f64_e32 v[58:59], v[130:131], v[100:101]
	v_add_f64_e32 v[64:65], v[132:133], v[84:85]
	v_add_f64_e32 v[74:75], v[146:147], v[142:143]
	v_add_f64_e64 v[60:61], v[80:81], -v[134:135]
	v_add_f64_e64 v[62:63], v[130:131], -v[100:101]
	v_add_f64_e32 v[82:83], v[102:103], v[152:153]
	v_add_f64_e64 v[68:69], v[132:133], -v[84:85]
	v_add_f64_e64 v[78:79], v[146:147], -v[142:143]
	;; [unrolled: 1-line block ×3, first 2 shown]
	v_add_f64_e32 v[96:97], v[112:113], v[156:157]
	v_add_f64_e64 v[100:101], v[112:113], -v[156:157]
	v_add_f64_e64 v[112:113], v[128:129], -v[160:161]
	v_fma_f64 v[166:167], v[56:57], s[14:15], -v[170:171]
	v_add_f64_e32 v[56:57], v[80:81], v[134:135]
	v_add_f64_e32 v[32:33], v[90:91], v[88:89]
	v_add_f64_e64 v[36:37], v[90:91], -v[88:89]
	v_add_f64_e64 v[122:123], v[148:149], -v[164:165]
	v_add_f64_e32 v[72:73], v[106:107], v[126:127]
	v_add_f64_e32 v[80:81], v[104:105], v[114:115]
	v_add_f64_e64 v[76:77], v[106:107], -v[126:127]
	v_add_f64_e64 v[84:85], v[104:105], -v[114:115]
	v_add_f64_e32 v[88:89], v[98:99], v[154:155]
	v_add_f64_e32 v[90:91], v[108:109], v[124:125]
	v_add_f64_e64 v[92:93], v[98:99], -v[154:155]
	v_add_f64_e32 v[98:99], v[138:139], v[158:159]
	v_add_f64_e32 v[104:105], v[128:129], v[160:161]
	;; [unrolled: 1-line block ×3, first 2 shown]
	v_add_f64_e64 v[94:95], v[108:109], -v[124:125]
	v_add_f64_e32 v[108:109], v[148:149], v[164:165]
	v_add_f64_e64 v[102:103], v[138:139], -v[158:159]
	v_add_f64_e64 v[114:115], v[140:141], -v[162:163]
	v_mul_lo_u16 v126, v197, 10
	v_add_f64_e32 v[110:111], v[150:151], v[166:167]
	v_add_f64_e64 v[124:125], v[150:151], -v[166:167]
	ds_store_b128 v117, v[0:3]
	ds_store_b128 v117, v[24:27] offset:16
	ds_store_b128 v117, v[32:35] offset:32
	;; [unrolled: 1-line block ×29, first 2 shown]
	v_add_nc_u32_e32 v17, 0x195, v237
	v_add_nc_u32_e32 v39, 0x2a3, v237
	;; [unrolled: 1-line block ×4, first 2 shown]
	global_wb scope:SCOPE_SE
	s_wait_dscnt 0x0
	v_and_b32_e32 v16, 0xffff, v17
	v_mov_b32_e32 v34, v17
	v_dual_mov_b32 v41, v39 :: v_dual_add_nc_u32 v216, 0x10e, v237
	v_lshlrev_b32_e32 v127, 6, v196
	s_delay_alu instid0(VALU_DEP_4) | instskip(NEXT) | instid1(VALU_DEP_3)
	v_mul_u32_u24_e32 v16, 0xcccd, v16
	v_dual_mov_b32 v123, v34 :: v_dual_and_b32 v4, 0xffff, v216
	v_and_b32_e32 v37, 0xffff, v33
	s_barrier_signal -1
	s_delay_alu instid0(VALU_DEP_3)
	v_lshrrev_b32_e32 v131, 19, v16
	s_barrier_wait -1
	global_inv scope:SCOPE_SE
	v_mov_b32_e32 v122, v41
	global_load_b128 v[0:3], v127, s[8:9]
	v_mul_lo_u16 v32, v131, 10
	v_mov_b32_e32 v40, v33
	v_sub_nc_u16 v5, v255, v126
	v_mul_u32_u24_e32 v37, 0xcccd, v37
	v_mul_u32_u24_e32 v12, 0xcccd, v4
	v_sub_nc_u16 v38, v34, v32
	s_delay_alu instid0(VALU_DEP_4) | instskip(NEXT) | instid1(VALU_DEP_4)
	v_dual_mov_b32 v128, v123 :: v_dual_and_b32 v129, 0xffff, v5
	v_lshrrev_b32_e32 v135, 19, v37
	s_delay_alu instid0(VALU_DEP_4) | instskip(NEXT) | instid1(VALU_DEP_4)
	v_lshrrev_b32_e32 v132, 19, v12
	v_and_b32_e32 v133, 0xffff, v38
	s_clause 0x2
	global_load_b128 v[8:11], v127, s[8:9] offset:16
	global_load_b128 v[4:7], v127, s[8:9] offset:32
	;; [unrolled: 1-line block ×3, first 2 shown]
	v_mul_lo_u16 v17, v132, 10
	v_lshlrev_b32_e32 v37, 6, v133
	v_dual_mov_b32 v116, v40 :: v_dual_add_nc_u32 v117, 0x3b1, v237
	v_mul_lo_u16 v236, v239, 41
	s_delay_alu instid0(VALU_DEP_4)
	v_sub_nc_u16 v17, v216, v17
	global_load_b128 v[56:59], v37, s[8:9] offset:32
	v_dual_mov_b32 v127, v237 :: v_dual_lshlrev_b32 v28, 6, v129
	v_and_b32_e32 v38, 0xffff, v39
	v_and_b32_e32 v130, 0xffff, v17
	s_clause 0x3
	global_load_b128 v[80:83], v37, s[8:9]
	global_load_b128 v[60:63], v37, s[8:9] offset:16
	global_load_b128 v[24:27], v28, s[8:9]
	global_load_b128 v[20:23], v28, s[8:9] offset:16
	v_add_nc_u32_e32 v126, 0x438, v127
	global_load_b128 v[16:19], v28, s[8:9] offset:32
	v_mul_u32_u24_e32 v38, 0xcccd, v38
	v_mul_lo_u16 v39, v135, 10
	v_lshrrev_b16 v237, 1, v255
	v_lshrrev_b16 v245, 1, v126
	v_dual_mov_b32 v123, v126 :: v_dual_mov_b32 v126, v128
	v_lshlrev_b32_e32 v36, 6, v130
	v_lshrrev_b32_e32 v136, 19, v38
	v_sub_nc_u16 v38, v40, v39
	v_lshrrev_b16 v239, 1, v216
	v_lshrrev_b16 v240, 1, v128
	s_clause 0x4
	global_load_b128 v[32:35], v36, s[8:9]
	global_load_b128 v[28:31], v28, s[8:9] offset:48
	global_load_b128 v[76:79], v36, s[8:9] offset:16
	;; [unrolled: 1-line block ×4, first 2 shown]
	v_and_b32_e32 v134, 0xffff, v38
	v_mul_lo_u16 v39, v136, 10
	v_lshlrev_b32_e32 v251, 4, v130
	v_lshrrev_b16 v241, 1, v116
	v_lshrrev_b16 v242, 1, v122
	v_lshlrev_b32_e32 v38, 6, v134
	s_clause 0x1
	global_load_b128 v[52:55], v37, s[8:9] offset:48
	global_load_b128 v[48:51], v38, s[8:9]
	v_sub_nc_u16 v36, v41, v39
	s_clause 0x1
	global_load_b128 v[44:47], v38, s[8:9] offset:16
	global_load_b128 v[40:43], v38, s[8:9] offset:32
	v_mul_u32_u24_e32 v247, 0x320, v132
	v_mul_u32_u24_e32 v248, 0x320, v136
	v_lshlrev_b32_e32 v252, 4, v133
	v_and_b32_e32 v137, 0xffff, v36
	v_lshlrev_b32_e32 v253, 4, v134
	v_lshrrev_b16 v243, 1, v124
	v_add_nc_u32_e32 v125, 0x4bf, v127
	v_lshrrev_b16 v244, 1, v117
	v_lshlrev_b32_e32 v92, 6, v137
	s_clause 0x4
	global_load_b128 v[36:39], v38, s[8:9] offset:48
	global_load_b128 v[68:71], v92, s[8:9]
	global_load_b128 v[84:87], v92, s[8:9] offset:16
	global_load_b128 v[88:91], v92, s[8:9] offset:32
	;; [unrolled: 1-line block ×3, first 2 shown]
	ds_load_b128 v[112:115], v238 offset:12960
	ds_load_b128 v[108:111], v238 offset:25920
	ds_load_b128 v[104:107], v238 offset:38880
	ds_load_b128 v[100:103], v238 offset:51840
	ds_load_b128 v[96:99], v238 offset:15120
	ds_load_b128 v[138:141], v238 offset:28080
	ds_load_b128 v[142:145], v238 offset:41040
	ds_load_b128 v[146:149], v238 offset:54000
	ds_load_b128 v[150:153], v238 offset:17280
	ds_load_b128 v[154:157], v238 offset:19440
	ds_load_b128 v[158:161], v238 offset:30240
	ds_load_b128 v[162:165], v238 offset:32400
	ds_load_b128 v[166:169], v238 offset:43200
	ds_load_b128 v[170:173], v238 offset:45360
	ds_load_b128 v[174:177], v238 offset:56160
	ds_load_b128 v[178:181], v238 offset:58320
	ds_load_b128 v[182:185], v238 offset:21600
	ds_load_b128 v[186:189], v238 offset:23760
	ds_load_b128 v[190:193], v238 offset:34560
	ds_load_b128 v[198:201], v238 offset:36720
	v_lshlrev_b32_e32 v254, 4, v137
	v_lshrrev_b16 v246, 1, v125
	s_wait_loadcnt_dscnt 0x1713
	v_mul_f64_e32 v[194:195], v[114:115], v[2:3]
	v_mul_f64_e32 v[2:3], v[112:113], v[2:3]
	s_wait_loadcnt_dscnt 0x1612
	v_mul_f64_e32 v[202:203], v[110:111], v[10:11]
	s_wait_loadcnt_dscnt 0x1511
	v_mul_f64_e32 v[204:205], v[106:107], v[6:7]
	v_mul_f64_e32 v[206:207], v[104:105], v[6:7]
	s_wait_loadcnt_dscnt 0x1410
	v_mul_f64_e32 v[208:209], v[102:103], v[14:15]
	v_mul_f64_e32 v[14:15], v[100:101], v[14:15]
	;; [unrolled: 1-line block ×3, first 2 shown]
	s_wait_loadcnt_dscnt 0x100f
	v_mul_f64_e32 v[210:211], v[98:99], v[26:27]
	v_mul_f64_e32 v[26:27], v[96:97], v[26:27]
	s_wait_loadcnt_dscnt 0xf0e
	v_mul_f64_e32 v[212:213], v[140:141], v[22:23]
	v_mul_f64_e32 v[214:215], v[138:139], v[22:23]
	;; [unrolled: 3-line block ×3, first 2 shown]
	v_fma_f64 v[112:113], v[112:113], v[0:1], -v[194:195]
	v_fma_f64 v[114:115], v[114:115], v[0:1], v[2:3]
	s_wait_loadcnt_dscnt 0xd0b
	v_mul_f64_e32 v[194:195], v[152:153], v[34:35]
	v_mul_f64_e32 v[34:35], v[150:151], v[34:35]
	s_wait_loadcnt 0xc
	v_mul_f64_e32 v[220:221], v[148:149], v[30:31]
	v_mul_f64_e32 v[30:31], v[146:147], v[30:31]
	s_wait_loadcnt_dscnt 0xb09
	v_mul_f64_e32 v[222:223], v[160:161], v[78:79]
	v_mul_f64_e32 v[78:79], v[158:159], v[78:79]
	v_fma_f64 v[202:203], v[108:109], v[8:9], -v[202:203]
	v_fma_f64 v[204:205], v[104:105], v[4:5], -v[204:205]
	v_fma_f64 v[4:5], v[106:107], v[4:5], v[206:207]
	v_fma_f64 v[100:101], v[100:101], v[12:13], -v[208:209]
	v_fma_f64 v[102:103], v[102:103], v[12:13], v[14:15]
	v_mul_f64_e32 v[12:13], v[156:157], v[82:83]
	v_mul_f64_e32 v[14:15], v[154:155], v[82:83]
	s_wait_dscnt 0x8
	v_mul_f64_e32 v[208:209], v[164:165], v[62:63]
	v_mul_f64_e32 v[62:63], v[162:163], v[62:63]
	v_fma_f64 v[10:11], v[110:111], v[8:9], v[10:11]
	ds_load_b128 v[0:3], v238 offset:47520
	ds_load_b128 v[6:9], v238 offset:49680
	;; [unrolled: 1-line block ×4, first 2 shown]
	v_fma_f64 v[82:83], v[96:97], v[24:25], -v[210:211]
	v_fma_f64 v[206:207], v[98:99], v[24:25], v[26:27]
	s_wait_loadcnt_dscnt 0xa0b
	v_mul_f64_e32 v[26:27], v[168:169], v[74:75]
	v_mul_f64_e32 v[74:75], v[166:167], v[74:75]
	v_fma_f64 v[138:139], v[138:139], v[20:21], -v[212:213]
	v_fma_f64 v[20:21], v[140:141], v[20:21], v[214:215]
	s_wait_loadcnt_dscnt 0x909
	v_mul_f64_e32 v[140:141], v[176:177], v[66:67]
	v_mul_f64_e32 v[66:67], v[174:175], v[66:67]
	v_fma_f64 v[142:143], v[142:143], v[16:17], -v[218:219]
	v_fma_f64 v[144:145], v[144:145], v[16:17], v[18:19]
	v_mul_f64_e32 v[16:17], v[172:173], v[58:59]
	v_mul_f64_e32 v[18:19], v[170:171], v[58:59]
	s_wait_loadcnt_dscnt 0x808
	v_mul_f64_e32 v[210:211], v[180:181], v[54:55]
	v_mul_f64_e32 v[54:55], v[178:179], v[54:55]
	s_wait_loadcnt_dscnt 0x707
	v_mul_f64_e32 v[212:213], v[184:185], v[50:51]
	v_mul_f64_e32 v[50:51], v[182:183], v[50:51]
	v_fma_f64 v[150:151], v[150:151], v[32:33], -v[194:195]
	v_fma_f64 v[34:35], v[152:153], v[32:33], v[34:35]
	ds_load_b128 v[22:25], v238
	ds_load_b128 v[96:99], v238 offset:2160
	v_fma_f64 v[146:147], v[146:147], v[28:29], -v[220:221]
	v_fma_f64 v[148:149], v[148:149], v[28:29], v[30:31]
	s_wait_loadcnt_dscnt 0x403
	v_mul_f64_e32 v[194:195], v[106:107], v[38:39]
	v_mul_f64_e32 v[38:39], v[104:105], v[38:39]
	v_fma_f64 v[158:159], v[158:159], v[76:77], -v[222:223]
	v_fma_f64 v[76:77], v[160:161], v[76:77], v[78:79]
	s_wait_loadcnt 0x3
	v_mul_f64_e32 v[78:79], v[188:189], v[70:71]
	v_mul_f64_e32 v[70:71], v[186:187], v[70:71]
	v_fma_f64 v[154:155], v[154:155], v[80:81], -v[12:13]
	v_fma_f64 v[80:81], v[156:157], v[80:81], v[14:15]
	s_wait_loadcnt 0x1
	v_mul_f64_e32 v[12:13], v[8:9], v[90:91]
	v_mul_f64_e32 v[14:15], v[6:7], v[90:91]
	s_wait_loadcnt_dscnt 0x2
	v_mul_f64_e32 v[90:91], v[110:111], v[94:95]
	v_mul_f64_e32 v[94:95], v[108:109], v[94:95]
	;; [unrolled: 1-line block ×8, first 2 shown]
	ds_load_b128 v[30:33], v238 offset:6480
	v_fma_f64 v[156:157], v[166:167], v[72:73], -v[26:27]
	ds_load_b128 v[26:29], v238 offset:4320
	v_fma_f64 v[72:73], v[168:169], v[72:73], v[74:75]
	s_wait_dscnt 0x3
	v_add_f64_e32 v[168:169], v[24:25], v[114:115]
	v_fma_f64 v[74:75], v[174:175], v[64:65], -v[140:141]
	v_fma_f64 v[140:141], v[162:163], v[60:61], -v[208:209]
	v_fma_f64 v[162:163], v[164:165], v[60:61], v[62:63]
	v_add_f64_e32 v[164:165], v[22:23], v[112:113]
	s_wait_dscnt 0x2
	v_add_f64_e32 v[174:175], v[98:99], v[206:207]
	v_fma_f64 v[66:67], v[176:177], v[64:65], v[66:67]
	v_fma_f64 v[166:167], v[170:171], v[56:57], -v[16:17]
	v_fma_f64 v[56:57], v[172:173], v[56:57], v[18:19]
	v_add_f64_e32 v[170:171], v[96:97], v[82:83]
	v_fma_f64 v[172:173], v[178:179], v[52:53], -v[210:211]
	v_fma_f64 v[52:53], v[180:181], v[52:53], v[54:55]
	v_fma_f64 v[54:55], v[182:183], v[48:49], -v[212:213]
	v_fma_f64 v[48:49], v[184:185], v[48:49], v[50:51]
	v_add_f64_e64 v[182:183], v[20:21], -v[206:207]
	v_add_f64_e64 v[184:185], v[144:145], -v[148:149]
	v_fma_f64 v[16:17], v[104:105], v[36:37], -v[194:195]
	v_fma_f64 v[18:19], v[106:107], v[36:37], v[38:39]
	s_wait_dscnt 0x0
	v_add_f64_e32 v[50:51], v[26:27], v[150:151]
	v_add_f64_e32 v[176:177], v[28:29], v[34:35]
	v_fma_f64 v[36:37], v[186:187], v[68:69], -v[78:79]
	v_fma_f64 v[38:39], v[188:189], v[68:69], v[70:71]
	v_add_f64_e64 v[104:105], v[10:11], -v[4:5]
	v_add_f64_e64 v[106:107], v[114:115], -v[102:103]
	v_fma_f64 v[70:71], v[6:7], v[88:89], -v[12:13]
	v_fma_f64 v[78:79], v[8:9], v[88:89], v[14:15]
	v_fma_f64 v[12:13], v[108:109], v[92:93], -v[90:91]
	v_fma_f64 v[14:15], v[110:111], v[92:93], v[94:95]
	;; [unrolled: 2-line block ×5, first 2 shown]
	v_add_f64_e64 v[92:93], v[10:11], -v[114:115]
	v_add_f64_e32 v[0:1], v[112:113], v[100:101]
	v_add_f64_e32 v[2:3], v[114:115], v[102:103]
	;; [unrolled: 1-line block ×5, first 2 shown]
	v_add_f64_e64 v[114:115], v[114:115], -v[10:11]
	v_add_f64_e32 v[186:187], v[82:83], v[146:147]
	v_add_f64_e32 v[6:7], v[164:165], v[202:203]
	;; [unrolled: 1-line block ×7, first 2 shown]
	v_add_f64_e64 v[88:89], v[202:203], -v[112:113]
	v_add_f64_e64 v[94:95], v[4:5], -v[102:103]
	;; [unrolled: 1-line block ×6, first 2 shown]
	v_add_f64_e32 v[200:201], v[158:159], v[156:157]
	v_add_f64_e32 v[202:203], v[76:77], v[72:73]
	v_add_f64_e32 v[10:11], v[50:51], v[158:159]
	v_add_f64_e32 v[50:51], v[176:177], v[76:77]
	v_add_f64_e32 v[208:209], v[150:151], v[74:75]
	v_add_f64_e32 v[210:211], v[34:35], v[66:67]
	v_add_f64_e32 v[218:219], v[140:141], v[166:167]
	v_add_f64_e32 v[220:221], v[162:163], v[56:57]
	v_add_f64_e32 v[222:223], v[154:155], v[172:173]
	v_add_f64_e32 v[224:225], v[80:81], v[52:53]
	v_add_f64_e32 v[84:85], v[30:31], v[154:155]
	v_add_f64_e32 v[86:87], v[32:33], v[80:81]
	v_add_f64_e64 v[194:195], v[20:21], -v[144:145]
	v_add_f64_e64 v[198:199], v[206:207], -v[148:149]
	;; [unrolled: 1-line block ×10, first 2 shown]
	v_add_f64_e32 v[4:5], v[110:111], v[4:5]
	v_add_f64_e32 v[110:111], v[44:45], v[40:41]
	v_add_f64_e64 v[82:83], v[82:83], -v[138:139]
	v_add_f64_e64 v[138:139], v[146:147], -v[142:143]
	v_add_f64_e32 v[6:7], v[6:7], v[204:205]
	v_add_f64_e32 v[144:145], v[168:169], v[144:145]
	;; [unrolled: 1-line block ×4, first 2 shown]
	v_fma_f64 v[230:231], v[0:1], -0.5, v[22:23]
	v_add_f64_e32 v[142:143], v[164:165], v[142:143]
	v_add_f64_e32 v[164:165], v[54:55], v[16:17]
	v_fma_f64 v[232:233], v[2:3], -0.5, v[24:25]
	v_fma_f64 v[24:25], v[160:161], -0.5, v[24:25]
	v_add_f64_e32 v[160:161], v[68:69], v[78:79]
	v_fma_f64 v[186:187], v[186:187], -0.5, v[96:97]
	v_fma_f64 v[188:189], v[188:189], -0.5, v[98:99]
	;; [unrolled: 1-line block ×4, first 2 shown]
	v_add_f64_e32 v[0:1], v[10:11], v[156:157]
	v_add_f64_e32 v[2:3], v[50:51], v[72:73]
	v_fma_f64 v[50:51], v[8:9], -0.5, v[22:23]
	v_add_f64_e32 v[22:23], v[42:43], v[70:71]
	v_add_f64_e32 v[190:191], v[36:37], v[12:13]
	;; [unrolled: 1-line block ×3, first 2 shown]
	ds_load_b128 v[58:61], v238 offset:8640
	ds_load_b128 v[62:65], v238 offset:10800
	v_fma_f64 v[200:201], v[200:201], -0.5, v[26:27]
	v_fma_f64 v[202:203], v[202:203], -0.5, v[28:29]
	;; [unrolled: 1-line block ×4, first 2 shown]
	v_add_f64_e64 v[208:209], v[34:35], -v[76:77]
	v_add_f64_e64 v[210:211], v[66:67], -v[72:73]
	v_fma_f64 v[218:219], v[218:219], -0.5, v[30:31]
	v_fma_f64 v[220:221], v[220:221], -0.5, v[32:33]
	;; [unrolled: 1-line block ×4, first 2 shown]
	v_add_f64_e64 v[222:223], v[34:35], -v[66:67]
	v_add_f64_e64 v[224:225], v[76:77], -v[72:73]
	;; [unrolled: 1-line block ×4, first 2 shown]
	v_add_f64_e32 v[10:11], v[4:5], v[102:103]
	v_add_f64_e64 v[102:103], v[172:173], -v[166:167]
	v_add_f64_e64 v[226:227], v[150:151], -v[158:159]
	v_add_f64_e32 v[8:9], v[6:7], v[100:101]
	v_add_f64_e64 v[100:101], v[154:155], -v[140:141]
	v_add_f64_e32 v[6:7], v[144:145], v[148:149]
	s_wait_dscnt 0x1
	v_fma_f64 v[148:149], v[110:111], -0.5, v[60:61]
	v_add_f64_e32 v[110:111], v[84:85], v[140:141]
	v_add_f64_e32 v[85:86], v[86:87], v[162:163]
	v_add_f64_e64 v[228:229], v[74:75], -v[156:157]
	v_add_f64_e64 v[76:77], v[150:151], -v[74:75]
	;; [unrolled: 1-line block ×5, first 2 shown]
	v_add_f64_e32 v[4:5], v[142:143], v[146:147]
	v_add_f64_e64 v[142:143], v[80:81], -v[162:163]
	v_add_f64_e64 v[144:145], v[52:53], -v[56:57]
	v_add_f64_e32 v[0:1], v[0:1], v[74:75]
	v_add_f64_e32 v[2:3], v[2:3], v[66:67]
	v_add_f64_e64 v[66:67], v[140:141], -v[154:155]
	v_add_f64_e32 v[74:75], v[58:59], v[54:55]
	v_fma_f64 v[146:147], v[204:205], -0.5, v[58:59]
	v_fma_f64 v[58:59], v[164:165], -0.5, v[58:59]
	;; [unrolled: 1-line block ×3, first 2 shown]
	s_wait_dscnt 0x0
	v_add_f64_e32 v[168:169], v[62:63], v[36:37]
	v_fma_f64 v[204:205], v[22:23], -0.5, v[62:63]
	v_fma_f64 v[160:161], v[160:161], -0.5, v[64:65]
	;; [unrolled: 1-line block ×4, first 2 shown]
	v_add_f64_e32 v[22:23], v[64:65], v[38:39]
	v_add_f64_e64 v[64:65], v[162:163], -v[80:81]
	v_add_f64_e32 v[192:193], v[88:89], v[90:91]
	v_add_f64_e64 v[87:88], v[166:167], -v[172:173]
	;; [unrolled: 2-line block ×3, first 2 shown]
	v_add_f64_e64 v[92:93], v[54:55], -v[178:179]
	v_add_f64_e64 v[94:95], v[16:17], -v[46:47]
	v_add_f64_e32 v[60:61], v[60:61], v[48:49]
	v_add_f64_e32 v[114:115], v[114:115], v[174:175]
	;; [unrolled: 1-line block ×4, first 2 shown]
	v_add_f64_e64 v[180:181], v[48:49], -v[44:45]
	v_add_f64_e32 v[82:83], v[82:83], v[138:139]
	v_add_f64_e64 v[138:139], v[18:19], -v[40:41]
	v_add_f64_e32 v[182:183], v[20:21], v[206:207]
	v_add_f64_e64 v[20:21], v[178:179], -v[54:55]
	v_add_f64_e64 v[206:207], v[46:47], -v[16:17]
	v_add_f64_e32 v[72:73], v[34:35], v[72:73]
	v_add_f64_e64 v[34:35], v[36:37], -v[42:43]
	v_add_f64_e32 v[100:101], v[100:101], v[102:103]
	v_add_f64_e64 v[102:103], v[12:13], -v[70:71]
	v_add_f64_e64 v[162:163], v[162:163], -v[56:57]
	v_add_f64_e32 v[56:57], v[85:86], v[56:57]
	v_add_f64_e32 v[170:171], v[112:113], v[170:171]
	v_lshrrev_b16 v84, 11, v236
	v_add_f64_e32 v[184:185], v[226:227], v[228:229]
	v_add_f64_e32 v[208:209], v[208:209], v[210:211]
	v_add_f64_e64 v[210:211], v[44:45], -v[48:49]
	v_add_f64_e32 v[150:151], v[150:151], v[156:157]
	v_add_f64_e64 v[156:157], v[40:41], -v[18:19]
	v_add_f64_e64 v[140:141], v[140:141], -v[166:167]
	v_add_f64_e32 v[166:167], v[110:111], v[166:167]
	v_and_b32_e32 v110, 0xffff, v237
	v_and_b32_e32 v113, 0xffff, v239
	;; [unrolled: 1-line block ×3, first 2 shown]
	v_add_f64_e32 v[142:143], v[142:143], v[144:145]
	v_add_f64_e64 v[144:145], v[42:43], -v[36:37]
	v_add_f64_e64 v[226:227], v[38:39], -v[68:69]
	;; [unrolled: 1-line block ×4, first 2 shown]
	v_add_f64_e32 v[228:229], v[66:67], v[87:88]
	v_add_f64_e64 v[66:67], v[70:71], -v[12:13]
	v_add_f64_e32 v[236:237], v[64:65], v[89:90]
	v_add_f64_e64 v[64:65], v[68:69], -v[38:39]
	;; [unrolled: 2-line block ×3, first 2 shown]
	v_add_f64_e32 v[60:61], v[60:61], v[44:45]
	v_add_f64_e32 v[94:95], v[168:169], v[42:43]
	;; [unrolled: 1-line block ×4, first 2 shown]
	v_add_f64_e64 v[154:155], v[154:155], -v[172:173]
	v_add_f64_e32 v[138:139], v[180:181], v[138:139]
	v_add_f64_e64 v[44:45], v[44:45], -v[40:41]
	v_add_f64_e64 v[48:49], v[48:49], -v[18:19]
	v_add_f64_e32 v[180:181], v[20:21], v[206:207]
	v_add_f64_e64 v[54:55], v[54:55], -v[16:17]
	v_add_f64_e64 v[42:43], v[42:43], -v[70:71]
	;; [unrolled: 1-line block ×3, first 2 shown]
	v_add_f64_e32 v[206:207], v[34:35], v[102:103]
	v_fma_f64 v[34:35], v[104:105], s[12:13], v[230:231]
	v_fma_f64 v[102:103], v[104:105], s[10:11], v[230:231]
	v_add_f64_e32 v[22:23], v[56:57], v[52:53]
	v_fma_f64 v[52:53], v[106:107], s[10:11], v[50:51]
	v_fma_f64 v[50:51], v[106:107], s[12:13], v[50:51]
	;; [unrolled: 1-line block ×4, first 2 shown]
	v_add_f64_e64 v[38:39], v[38:39], -v[14:15]
	v_add_f64_e32 v[156:157], v[210:211], v[156:157]
	v_fma_f64 v[210:211], v[108:109], s[10:11], v[232:233]
	v_add_f64_e32 v[20:21], v[166:167], v[172:173]
	v_add_f64_e64 v[36:37], v[36:37], -v[12:13]
	v_mul_u32_u24_e32 v230, 0x320, v217
	v_mul_u32_u24_e32 v231, 0x320, v197
	v_and_b32_e32 v111, 0xffff, v241
	v_and_b32_e32 v91, 0xffff, v242
	v_mul_lo_u16 v241, v84, 50
	v_add_f64_e32 v[85:86], v[226:227], v[85:86]
	v_fma_f64 v[226:227], v[108:109], s[12:13], v[232:233]
	v_mul_u32_u24_e32 v242, 0x147b, v113
	v_add_f64_e32 v[166:167], v[144:145], v[66:67]
	v_fma_f64 v[66:67], v[194:195], s[10:11], v[186:187]
	v_add_f64_e64 v[144:145], v[178:179], -v[46:47]
	v_fma_f64 v[178:179], v[222:223], s[12:13], v[200:201]
	v_add_f64_e32 v[172:173], v[64:65], v[92:93]
	v_fma_f64 v[64:65], v[194:195], s[12:13], v[186:187]
	v_add_f64_e32 v[40:41], v[60:61], v[40:41]
	v_fma_f64 v[60:61], v[198:199], s[10:11], v[96:97]
	v_fma_f64 v[96:97], v[198:199], s[12:13], v[96:97]
	v_add_f64_e32 v[70:71], v[94:95], v[70:71]
	v_fma_f64 v[94:95], v[214:215], s[12:13], v[98:99]
	;; [unrolled: 3-line block ×3, first 2 shown]
	v_fma_f64 v[186:187], v[76:77], s[10:11], v[202:203]
	v_fma_f64 v[200:201], v[224:225], s[12:13], v[26:27]
	;; [unrolled: 1-line block ×3, first 2 shown]
	v_add_f64_e32 v[46:47], v[74:75], v[46:47]
	v_fma_f64 v[34:35], v[106:107], s[0:1], v[34:35]
	v_fma_f64 v[102:103], v[106:107], s[14:15], v[102:103]
	;; [unrolled: 1-line block ×17, first 2 shown]
	v_mul_u32_u24_e32 v110, 0x147b, v110
	v_fma_f64 v[152:153], v[152:153], s[0:1], v[226:227]
	v_and_b32_e32 v90, 0xffff, v243
	v_mul_u32_u24_e32 v243, 0x147b, v112
	v_fma_f64 v[66:67], v[198:199], s[14:15], v[66:67]
	scratch_store_b32 off, v125, off offset:12 ; 4-byte Folded Spill
	v_fma_f64 v[178:179], v[224:225], s[14:15], v[178:179]
	v_and_b32_e32 v89, 0xffff, v244
	v_fma_f64 v[64:65], v[198:199], s[0:1], v[64:65]
	v_fma_f64 v[198:199], v[154:155], s[12:13], v[220:221]
	;; [unrolled: 1-line block ×33, first 2 shown]
	v_lshlrev_b32_e32 v95, 4, v129
	v_lshlrev_b32_e32 v94, 4, v196
	v_mul_u32_u24_e32 v196, 0x320, v131
	v_sub_nc_u16 v93, v127, v241
	v_add_f64_e32 v[18:19], v[40:41], v[18:19]
	v_fma_f64 v[40:41], v[174:175], s[4:5], v[64:65]
	v_fma_f64 v[197:198], v[140:141], s[14:15], v[198:199]
	;; [unrolled: 1-line block ×9, first 2 shown]
	v_mul_u32_u24_e32 v199, 0x320, v135
	v_fma_f64 v[133:134], v[44:45], s[0:1], v[212:213]
	v_fma_f64 v[135:136], v[144:145], s[14:15], v[224:225]
	;; [unrolled: 1-line block ×3, first 2 shown]
	v_add3_u32 v241, 0, v230, v94
	v_lshrrev_b32_e32 v94, 17, v242
	v_add3_u32 v242, 0, v231, v95
	v_fma_f64 v[32:33], v[170:171], s[4:5], v[52:53]
	v_fma_f64 v[148:149], v[48:49], s[0:1], v[186:187]
	;; [unrolled: 1-line block ×19, first 2 shown]
	v_add_f64_e32 v[16:17], v[46:47], v[16:17]
	v_fma_f64 v[44:45], v[174:175], s[4:5], v[66:67]
	v_fma_f64 v[46:47], v[176:177], s[4:5], v[214:215]
	;; [unrolled: 1-line block ×6, first 2 shown]
	v_lshrrev_b32_e32 v92, 17, v110
	v_fma_f64 v[223:224], v[36:37], s[14:15], v[30:31]
	v_fma_f64 v[230:231], v[36:37], s[0:1], v[80:81]
	;; [unrolled: 1-line block ×7, first 2 shown]
	v_add_f64_e32 v[12:13], v[70:71], v[12:13]
	v_fma_f64 v[68:69], v[150:151], s[4:5], v[221:222]
	v_fma_f64 v[70:71], v[72:73], s[4:5], v[76:77]
	;; [unrolled: 1-line block ×6, first 2 shown]
	v_mul_lo_u16 v110, v92, 50
	v_fma_f64 v[80:81], v[228:229], s[4:5], v[210:211]
	v_fma_f64 v[82:83], v[236:237], s[4:5], v[129:130]
	v_fma_f64 v[95:96], v[228:229], s[4:5], v[217:218]
	v_fma_f64 v[97:98], v[236:237], s[4:5], v[131:132]
	v_add_f64_e32 v[14:15], v[78:79], v[14:15]
	v_fma_f64 v[76:77], v[100:101], s[4:5], v[162:163]
	v_fma_f64 v[78:79], v[142:143], s[4:5], v[140:141]
	;; [unrolled: 1-line block ×4, first 2 shown]
	v_sub_nc_u16 v250, v255, v110
	v_fma_f64 v[107:108], v[180:181], s[4:5], v[148:149]
	v_fma_f64 v[109:110], v[156:157], s[4:5], v[186:187]
	;; [unrolled: 1-line block ×12, first 2 shown]
	v_mul_u32_u24_e32 v244, 0x147b, v111
	v_fma_f64 v[143:144], v[172:173], s[4:5], v[223:224]
	v_fma_f64 v[147:148], v[172:173], s[4:5], v[230:231]
	v_add3_u32 v85, 0, v247, v251
	v_add3_u32 v86, 0, v196, v252
	;; [unrolled: 1-line block ×4, first 2 shown]
	global_wb scope:SCOPE_SE
	s_wait_storecnt 0x0
	s_barrier_signal -1
	s_barrier_wait -1
	global_inv scope:SCOPE_SE
	ds_store_b128 v241, v[8:11]
	ds_store_b128 v241, v[32:35] offset:160
	ds_store_b128 v241, v[24:27] offset:320
	ds_store_b128 v241, v[28:31] offset:480
	ds_store_b128 v241, v[36:39] offset:640
	ds_store_b128 v242, v[4:7]
	ds_store_b128 v242, v[48:51] offset:160
	ds_store_b128 v242, v[40:43] offset:320
	ds_store_b128 v242, v[44:47] offset:480
	ds_store_b128 v242, v[52:55] offset:640
	;; [unrolled: 5-line block ×6, first 2 shown]
	v_lshrrev_b32_e32 v96, 17, v243
	v_lshrrev_b32_e32 v98, 17, v244
	v_and_b32_e32 v93, 0xff, v93
	v_mul_lo_u16 v8, v94, 50
	v_and_b32_e32 v95, 0xffff, v250
	v_mul_lo_u16 v14, v96, 50
	v_mul_lo_u16 v17, v98, 50
	v_lshlrev_b32_e32 v249, 5, v93
	v_sub_nc_u16 v13, v216, v8
	global_wb scope:SCOPE_SE
	s_wait_dscnt 0x0
	v_sub_nc_u16 v18, v128, v14
	v_sub_nc_u16 v17, v116, v17
	s_barrier_signal -1
	s_barrier_wait -1
	global_inv scope:SCOPE_SE
	v_and_b32_e32 v102, 0xffff, v18
	global_load_b128 v[0:3], v249, s[8:9] offset:640
	v_lshlrev_b32_e32 v12, 5, v95
	v_and_b32_e32 v97, 0xffff, v13
	global_load_b128 v[4:7], v249, s[8:9] offset:656
	v_and_b32_e32 v104, 0xffff, v17
	v_lshlrev_b32_e32 v17, 5, v102
	global_load_b128 v[8:11], v12, s[8:9] offset:640
	v_lshlrev_b32_e32 v19, 5, v97
	v_and_b32_e32 v88, 0xffff, v245
	v_and_b32_e32 v87, 0xffff, v246
	s_clause 0x2
	global_load_b128 v[72:75], v17, s[8:9] offset:640
	global_load_b128 v[12:15], v12, s[8:9] offset:656
	;; [unrolled: 1-line block ×3, first 2 shown]
	v_mul_u32_u24_e32 v245, 0x147b, v91
	v_mul_u32_u24_e32 v246, 0x147b, v90
	s_clause 0x1
	global_load_b128 v[40:43], v19, s[8:9] offset:640
	global_load_b128 v[68:71], v19, s[8:9] offset:656
	v_mul_u32_u24_e32 v232, 0x147b, v89
	v_mul_u32_u24_e32 v16, 0x147b, v87
	v_lshrrev_b32_e32 v99, 17, v245
	v_lshrrev_b32_e32 v100, 17, v246
	v_mul_u32_u24_e32 v233, 0x147b, v88
	v_lshrrev_b32_e32 v101, 17, v232
	v_lshrrev_b32_e32 v105, 17, v16
	v_mul_lo_u16 v20, v99, 50
	v_mul_lo_u16 v16, v100, 50
	v_lshrrev_b32_e32 v103, 17, v233
	v_mul_lo_u16 v19, v101, 50
	v_mul_lo_u16 v28, v105, 50
	v_sub_nc_u16 v18, v122, v20
	v_sub_nc_u16 v16, v124, v16
	v_mul_lo_u16 v17, v103, 50
	v_mov_b32_e32 v254, v116
	v_sub_nc_u16 v33, v125, v28
	v_and_b32_e32 v106, 0xffff, v18
	v_and_b32_e32 v107, 0xffff, v16
	v_sub_nc_u16 v16, v117, v19
	v_lshlrev_b32_e32 v18, 5, v104
	v_sub_nc_u16 v30, v123, v17
	v_lshlrev_b32_e32 v20, 5, v106
	v_lshlrev_b32_e32 v29, 5, v107
	v_and_b32_e32 v108, 0xffff, v16
	s_clause 0x1
	global_load_b128 v[56:59], v18, s[8:9] offset:640
	global_load_b128 v[52:55], v18, s[8:9] offset:656
	v_and_b32_e32 v109, 0xffff, v30
	s_clause 0x1
	scratch_store_b32 off, v254, off offset:8
	scratch_store_b32 off, v122, off
	global_load_b128 v[24:27], v20, s[8:9] offset:640
	v_lshlrev_b32_e32 v32, 5, v108
	s_clause 0x1
	global_load_b128 v[20:23], v20, s[8:9] offset:656
	global_load_b128 v[16:19], v29, s[8:9] offset:640
	v_and_b32_e32 v110, 0xffff, v33
	v_lshlrev_b32_e32 v34, 5, v109
	s_clause 0x3
	global_load_b128 v[44:47], v29, s[8:9] offset:656
	global_load_b128 v[28:31], v32, s[8:9] offset:640
	;; [unrolled: 1-line block ×4, first 2 shown]
	v_lshlrev_b32_e32 v76, 5, v110
	s_clause 0x2
	global_load_b128 v[32:35], v34, s[8:9] offset:656
	global_load_b128 v[64:67], v76, s[8:9] offset:640
	;; [unrolled: 1-line block ×3, first 2 shown]
	v_dual_mov_b32 v116, v127 :: v_dual_mov_b32 v81, 0
	v_and_b32_e32 v114, 0xffff, v84
	v_mul_u32_u24_e32 v134, 0x960, v94
	v_lshlrev_b32_e32 v94, 4, v93
	s_delay_alu instid0(VALU_DEP_4)
	v_add_nc_u32_e32 v82, -15, v116
	v_cmp_gt_u32_e64 s0, 15, v116
	v_mov_b32_e32 v130, v81
	v_mul_u32_u24_e32 v114, 0x960, v114
	v_mul_u32_u24_e32 v115, 0xda75, v91
	;; [unrolled: 1-line block ×3, first 2 shown]
	s_wait_alu 0xf1ff
	v_cndmask_b32_e64 v86, v82, v255, s0
	v_mul_u32_u24_e32 v133, 0x960, v92
	ds_load_b128 v[90:93], v238 offset:43200
	v_mul_u32_u24_e32 v135, 0x960, v96
	v_mul_u32_u24_e32 v244, 0x960, v103
	v_lshlrev_b32_e32 v129, 1, v86
	v_add3_u32 v114, 0, v114, v94
	v_lshlrev_b32_e32 v103, 4, v95
	v_lshlrev_b32_e32 v138, 4, v97
	ds_load_b128 v[94:97], v238 offset:23760
	v_lshlrev_b64_e32 v[84:85], 4, v[129:130]
	ds_load_b128 v[129:132], v238 offset:21600
	v_mul_u32_u24_e32 v136, 0x960, v98
	v_mul_u32_u24_e32 v137, 0x960, v99
	v_mul_u32_u24_e32 v242, 0x960, v100
	v_mul_u32_u24_e32 v243, 0x960, v101
	ds_load_b128 v[98:101], v238 offset:45360
	v_mul_u32_u24_e32 v245, 0x960, v105
	v_lshlrev_b32_e32 v139, 4, v102
	v_lshlrev_b32_e32 v140, 4, v104
	v_add3_u32 v249, 0, v133, v103
	ds_load_b128 v[102:105], v238 offset:25920
	v_mul_u32_u24_e32 v113, 0xda75, v113
	v_mul_u32_u24_e32 v112, 0xda75, v112
	v_lshlrev_b32_e32 v141, 4, v106
	v_lshlrev_b32_e32 v246, 4, v107
	v_lshlrev_b32_e32 v247, 4, v108
	v_lshlrev_b32_e32 v248, 4, v109
	ds_load_b128 v[106:109], v238 offset:47520
	v_mul_u32_u24_e32 v237, 0xda75, v89
	v_mul_u32_u24_e32 v241, 0xda75, v87
	v_lshrrev_b32_e32 v87, 22, v113
	v_lshrrev_b32_e32 v89, 22, v112
	v_add3_u32 v250, 0, v134, v138
	v_add3_u32 v251, 0, v135, v139
	;; [unrolled: 1-line block ×3, first 2 shown]
	ds_load_b128 v[133:136], v238 offset:28080
	v_add3_u32 v253, 0, v137, v141
	ds_load_b128 v[137:140], v238 offset:49680
	ds_load_b128 v[141:144], v238 offset:30240
	;; [unrolled: 1-line block ×13, first 2 shown]
	s_mov_b32 s4, 0xe8584caa
	s_mov_b32 s5, 0x3febb67a
	;; [unrolled: 1-line block ×3, first 2 shown]
	s_wait_alu 0xfffe
	s_mov_b32 s10, s4
	v_lshlrev_b32_e32 v80, 1, v116
	v_lshlrev_b32_e32 v110, 4, v110
	v_mov_b32_e32 v128, v124
	v_mul_u32_u24_e32 v111, 0xda75, v111
	v_mul_u32_u24_e32 v88, 0xda75, v88
	v_lshlrev_b64_e32 v[82:83], 4, v[80:81]
	v_lshlrev_b32_e32 v86, 4, v86
	s_delay_alu instid0(VALU_DEP_2) | instskip(SKIP_1) | instid1(VALU_DEP_3)
	v_add_co_u32 v124, s0, s8, v82
	s_wait_alu 0xf1ff
	v_add_co_ci_u32_e64 v125, s0, s9, v83, s0
	v_mov_b32_e32 v83, v126
	s_wait_loadcnt_dscnt 0x1311
	v_mul_f64_e32 v[112:113], v[131:132], v[2:3]
	v_mul_f64_e32 v[2:3], v[129:130], v[2:3]
	s_wait_loadcnt 0x12
	v_mul_f64_e32 v[189:190], v[92:93], v[6:7]
	v_mul_f64_e32 v[6:7], v[90:91], v[6:7]
	s_wait_loadcnt 0x11
	v_mul_f64_e32 v[191:192], v[96:97], v[10:11]
	v_mul_f64_e32 v[10:11], v[94:95], v[10:11]
	s_wait_loadcnt_dscnt 0x100d
	v_mul_f64_e32 v[199:200], v[135:136], v[74:75]
	s_wait_loadcnt 0xf
	v_mul_f64_e32 v[193:194], v[100:101], v[14:15]
	v_mul_f64_e32 v[14:15], v[98:99], v[14:15]
	;; [unrolled: 1-line block ×3, first 2 shown]
	s_wait_loadcnt_dscnt 0xe0c
	v_mul_f64_e32 v[201:202], v[139:140], v[62:63]
	s_wait_loadcnt 0xd
	v_mul_f64_e32 v[195:196], v[104:105], v[42:43]
	v_mul_f64_e32 v[42:43], v[102:103], v[42:43]
	s_wait_loadcnt 0xc
	v_mul_f64_e32 v[197:198], v[108:109], v[70:71]
	v_mul_f64_e32 v[70:71], v[106:107], v[70:71]
	;; [unrolled: 1-line block ×3, first 2 shown]
	v_fma_f64 v[112:113], v[129:130], v[0:1], -v[112:113]
	v_fma_f64 v[129:130], v[131:132], v[0:1], v[2:3]
	v_fma_f64 v[90:91], v[90:91], v[4:5], -v[189:190]
	s_wait_loadcnt_dscnt 0xb0b
	v_mul_f64_e32 v[203:204], v[143:144], v[58:59]
	v_mul_f64_e32 v[58:59], v[141:142], v[58:59]
	s_wait_loadcnt_dscnt 0xa09
	v_mul_f64_e32 v[131:132], v[151:152], v[54:55]
	v_mul_f64_e32 v[205:206], v[149:150], v[54:55]
	v_fma_f64 v[94:95], v[94:95], v[8:9], -v[191:192]
	s_wait_loadcnt 0x9
	v_mul_f64_e32 v[207:208], v[147:148], v[26:27]
	v_mul_f64_e32 v[26:27], v[145:146], v[26:27]
	s_wait_loadcnt_dscnt 0x808
	v_mul_f64_e32 v[189:190], v[155:156], v[22:23]
	v_mul_f64_e32 v[209:210], v[153:154], v[22:23]
	s_wait_loadcnt_dscnt 0x707
	;; [unrolled: 3-line block ×3, first 2 shown]
	v_mul_f64_e32 v[191:192], v[167:168], v[46:47]
	v_mul_f64_e32 v[46:47], v[165:166], v[46:47]
	s_wait_loadcnt 0x5
	v_mul_f64_e32 v[213:214], v[163:164], v[30:31]
	v_fma_f64 v[98:99], v[98:99], v[12:13], -v[193:194]
	v_mul_f64_e32 v[30:31], v[161:162], v[30:31]
	s_wait_loadcnt_dscnt 0x404
	v_mul_f64_e32 v[193:194], v[171:172], v[50:51]
	v_mul_f64_e32 v[217:218], v[169:170], v[50:51]
	s_wait_loadcnt_dscnt 0x303
	v_mul_f64_e32 v[219:220], v[175:176], v[38:39]
	v_fma_f64 v[102:103], v[102:103], v[40:41], -v[195:196]
	v_fma_f64 v[42:43], v[104:105], v[40:41], v[42:43]
	v_mul_f64_e32 v[104:105], v[173:174], v[38:39]
	s_wait_loadcnt_dscnt 0x201
	v_mul_f64_e32 v[195:196], v[183:184], v[34:35]
	v_mul_f64_e32 v[34:35], v[181:182], v[34:35]
	s_wait_loadcnt 0x1
	v_mul_f64_e32 v[221:222], v[179:180], v[66:67]
	v_fma_f64 v[106:107], v[106:107], v[68:69], -v[197:198]
	v_fma_f64 v[70:71], v[108:109], v[68:69], v[70:71]
	v_mul_f64_e32 v[108:109], v[177:178], v[66:67]
	s_wait_loadcnt_dscnt 0x0
	v_mul_f64_e32 v[197:198], v[187:188], v[78:79]
	v_mul_f64_e32 v[78:79], v[185:186], v[78:79]
	v_fma_f64 v[92:93], v[92:93], v[4:5], v[6:7]
	v_fma_f64 v[96:97], v[96:97], v[8:9], v[10:11]
	;; [unrolled: 1-line block ×3, first 2 shown]
	v_fma_f64 v[133:134], v[133:134], v[72:73], -v[199:200]
	v_fma_f64 v[72:73], v[135:136], v[72:73], v[74:75]
	v_fma_f64 v[74:75], v[137:138], v[60:61], -v[201:202]
	v_fma_f64 v[62:63], v[139:140], v[60:61], v[62:63]
	ds_load_b128 v[0:3], v238
	ds_load_b128 v[4:7], v238 offset:2160
	v_fma_f64 v[135:136], v[141:142], v[56:57], -v[203:204]
	v_fma_f64 v[137:138], v[143:144], v[56:57], v[58:59]
	v_fma_f64 v[131:132], v[149:150], v[52:53], -v[131:132]
	v_fma_f64 v[139:140], v[151:152], v[52:53], v[205:206]
	ds_load_b128 v[8:11], v238 offset:4320
	ds_load_b128 v[12:15], v238 offset:6480
	v_fma_f64 v[141:142], v[145:146], v[24:25], -v[207:208]
	v_fma_f64 v[26:27], v[147:148], v[24:25], v[26:27]
	v_fma_f64 v[143:144], v[153:154], v[20:21], -v[189:190]
	v_fma_f64 v[20:21], v[155:156], v[20:21], v[209:210]
	;; [unrolled: 2-line block ×4, first 2 shown]
	v_fma_f64 v[18:19], v[161:162], v[28:29], -v[213:214]
	ds_load_b128 v[38:41], v238 offset:8640
	ds_load_b128 v[54:57], v238 offset:10800
	v_fma_f64 v[28:29], v[163:164], v[28:29], v[30:31]
	v_fma_f64 v[46:47], v[169:170], v[48:49], -v[193:194]
	v_fma_f64 v[48:49], v[171:172], v[48:49], v[217:218]
	v_fma_f64 v[30:31], v[173:174], v[36:37], -v[219:220]
	ds_load_b128 v[50:53], v238 offset:12960
	ds_load_b128 v[58:61], v238 offset:15120
	s_wait_dscnt 0x7
	v_add_f64_e32 v[151:152], v[2:3], v[129:130]
	v_fma_f64 v[36:37], v[175:176], v[36:37], v[104:105]
	v_fma_f64 v[104:105], v[181:182], v[32:33], -v[195:196]
	v_fma_f64 v[149:150], v[183:184], v[32:33], v[34:35]
	v_fma_f64 v[32:33], v[177:178], v[64:65], -v[221:222]
	v_add_f64_e32 v[155:156], v[94:95], v[98:99]
	s_wait_dscnt 0x6
	v_add_f64_e32 v[161:162], v[4:5], v[94:95]
	v_fma_f64 v[34:35], v[179:180], v[64:65], v[108:109]
	v_fma_f64 v[64:65], v[185:186], v[76:77], -v[197:198]
	v_fma_f64 v[76:77], v[187:188], v[76:77], v[78:79]
	v_add_f64_e32 v[78:79], v[112:113], v[90:91]
	v_add_f64_e32 v[108:109], v[129:130], v[92:93]
	;; [unrolled: 1-line block ×7, first 2 shown]
	ds_load_b128 v[22:25], v238 offset:17280
	ds_load_b128 v[66:69], v238 offset:19440
	s_wait_dscnt 0x7
	v_add_f64_e32 v[167:168], v[10:11], v[42:43]
	v_add_f64_e32 v[169:170], v[8:9], v[102:103]
	v_add_f64_e64 v[171:172], v[42:43], -v[70:71]
	v_add_f64_e32 v[42:43], v[133:134], v[74:75]
	v_add_f64_e32 v[173:174], v[72:73], v[62:63]
	;; [unrolled: 1-line block ×4, first 2 shown]
	s_wait_dscnt 0x5
	v_add_f64_e32 v[183:184], v[40:41], v[137:138]
	v_add_f64_e32 v[185:186], v[38:39], v[135:136]
	;; [unrolled: 1-line block ×4, first 2 shown]
	s_wait_dscnt 0x4
	v_add_f64_e32 v[193:194], v[54:55], v[141:142]
	v_add_f64_e32 v[197:198], v[145:146], v[147:148]
	;; [unrolled: 1-line block ×3, first 2 shown]
	s_wait_dscnt 0x3
	v_add_f64_e32 v[203:204], v[50:51], v[145:146]
	v_add_f64_e64 v[129:130], v[129:130], -v[92:93]
	v_add_f64_e32 v[207:208], v[18:19], v[46:47]
	v_add_f64_e32 v[209:210], v[28:29], v[48:49]
	v_add_f64_e64 v[112:113], v[112:113], -v[90:91]
	v_add_f64_e32 v[201:202], v[52:53], v[16:17]
	s_wait_dscnt 0x2
	v_add_f64_e32 v[211:212], v[60:61], v[28:29]
	s_wait_dscnt 0x1
	v_add_f64_e32 v[225:226], v[24:25], v[36:37]
	v_add_f64_e32 v[221:222], v[30:31], v[104:105]
	;; [unrolled: 1-line block ×4, first 2 shown]
	v_add_f64_e64 v[96:97], v[96:97], -v[100:101]
	v_add_f64_e64 v[94:95], v[94:95], -v[98:99]
	;; [unrolled: 1-line block ×3, first 2 shown]
	v_add_f64_e32 v[229:230], v[32:33], v[64:65]
	v_add_f64_e32 v[231:232], v[34:35], v[76:77]
	v_fma_f64 v[78:79], v[78:79], -0.5, v[0:1]
	v_fma_f64 v[108:109], v[108:109], -0.5, v[2:3]
	v_add_f64_e32 v[2:3], v[151:152], v[92:93]
	v_fma_f64 v[92:93], v[155:156], -0.5, v[4:5]
	v_fma_f64 v[155:156], v[157:158], -0.5, v[6:7]
	v_add_f64_e32 v[6:7], v[159:160], v[100:101]
	v_add_f64_e32 v[4:5], v[161:162], v[98:99]
	v_fma_f64 v[98:99], v[163:164], -0.5, v[8:9]
	v_fma_f64 v[100:101], v[165:166], -0.5, v[10:11]
	v_add_f64_e32 v[175:176], v[14:15], v[72:73]
	v_add_f64_e32 v[0:1], v[153:154], v[90:91]
	s_wait_dscnt 0x0
	v_add_f64_e32 v[90:91], v[66:67], v[32:33]
	v_add_f64_e32 v[177:178], v[12:13], v[133:134]
	v_add_f64_e64 v[72:73], v[72:73], -v[62:63]
	v_add_f64_e64 v[133:134], v[133:134], -v[74:75]
	v_add_f64_e32 v[10:11], v[167:168], v[70:71]
	v_add_f64_e32 v[8:9], v[169:170], v[106:107]
	v_fma_f64 v[70:71], v[42:43], -0.5, v[12:13]
	v_fma_f64 v[106:107], v[173:174], -0.5, v[14:15]
	v_add_f64_e64 v[137:138], v[137:138], -v[139:140]
	v_add_f64_e64 v[135:136], v[135:136], -v[131:132]
	v_add_f64_e32 v[233:234], v[68:69], v[34:35]
	v_fma_f64 v[157:158], v[179:180], -0.5, v[38:39]
	v_fma_f64 v[159:160], v[181:182], -0.5, v[40:41]
	v_add_f64_e32 v[191:192], v[56:57], v[26:27]
	v_add_f64_e64 v[195:196], v[26:27], -v[20:21]
	v_add_f64_e64 v[141:142], v[141:142], -v[143:144]
	;; [unrolled: 1-line block ×4, first 2 shown]
	v_add_f64_e32 v[18:19], v[183:184], v[139:140]
	v_add_f64_e32 v[16:17], v[185:186], v[131:132]
	v_fma_f64 v[131:132], v[187:188], -0.5, v[54:55]
	v_fma_f64 v[139:140], v[189:190], -0.5, v[56:57]
	v_add_f64_e64 v[145:146], v[145:146], -v[147:148]
	v_add_f64_e32 v[227:228], v[22:23], v[30:31]
	v_add_f64_e32 v[26:27], v[193:194], v[143:144]
	v_fma_f64 v[143:144], v[197:198], -0.5, v[50:51]
	v_fma_f64 v[161:162], v[199:200], -0.5, v[52:53]
	v_add_f64_e64 v[217:218], v[28:29], -v[48:49]
	v_add_f64_e64 v[153:154], v[30:31], -v[104:105]
	v_add_f64_e32 v[30:31], v[203:204], v[147:148]
	v_fma_f64 v[147:148], v[207:208], -0.5, v[58:59]
	v_fma_f64 v[163:164], v[209:210], -0.5, v[60:61]
	v_add_f64_e64 v[151:152], v[36:37], -v[149:150]
	v_fma_f64 v[165:166], v[221:222], -0.5, v[22:23]
	v_fma_f64 v[24:25], v[223:224], -0.5, v[24:25]
	v_add_f64_e64 v[235:236], v[34:35], -v[76:77]
	v_add_f64_e64 v[239:240], v[32:33], -v[64:65]
	v_add_f64_e32 v[22:23], v[225:226], v[149:150]
	v_fma_f64 v[149:150], v[229:230], -0.5, v[66:67]
	v_fma_f64 v[167:168], v[231:232], -0.5, v[68:69]
	v_add_f64_e32 v[32:33], v[201:202], v[44:45]
	v_fma_f64 v[42:43], v[129:130], s[4:5], v[78:79]
	s_wait_alu 0xfffe
	v_fma_f64 v[44:45], v[112:113], s[10:11], v[108:109]
	v_add_f64_e32 v[36:37], v[211:212], v[48:49]
	v_add_f64_e32 v[34:35], v[213:214], v[46:47]
	v_fma_f64 v[46:47], v[129:130], s[10:11], v[78:79]
	v_fma_f64 v[48:49], v[112:113], s[4:5], v[108:109]
	v_fma_f64 v[50:51], v[96:97], s[4:5], v[92:93]
	v_fma_f64 v[52:53], v[94:95], s[10:11], v[155:156]
	v_fma_f64 v[54:55], v[96:97], s[10:11], v[92:93]
	v_fma_f64 v[56:57], v[94:95], s[4:5], v[155:156]
	v_fma_f64 v[58:59], v[171:172], s[4:5], v[98:99]
	v_fma_f64 v[60:61], v[102:103], s[10:11], v[100:101]
	v_add_f64_e32 v[14:15], v[175:176], v[62:63]
	v_add_f64_e32 v[38:39], v[90:91], v[64:65]
	v_fma_f64 v[62:63], v[171:172], s[10:11], v[98:99]
	v_fma_f64 v[64:65], v[102:103], s[4:5], v[100:101]
	v_add_f64_e32 v[12:13], v[177:178], v[74:75]
	v_fma_f64 v[66:67], v[72:73], s[4:5], v[70:71]
	v_fma_f64 v[68:69], v[133:134], s[10:11], v[106:107]
	v_fma_f64 v[70:71], v[72:73], s[10:11], v[70:71]
	v_fma_f64 v[72:73], v[133:134], s[4:5], v[106:107]
	v_add_f64_e32 v[40:41], v[233:234], v[76:77]
	v_fma_f64 v[74:75], v[137:138], s[4:5], v[157:158]
	v_fma_f64 v[76:77], v[135:136], s[10:11], v[159:160]
	;; [unrolled: 5-line block ×4, first 2 shown]
	v_fma_f64 v[106:107], v[205:206], s[10:11], v[143:144]
	v_fma_f64 v[108:109], v[145:146], s[4:5], v[161:162]
	;; [unrolled: 1-line block ×14, first 2 shown]
	v_add3_u32 v24, 0, v242, v246
	v_add3_u32 v25, 0, v243, v247
	;; [unrolled: 1-line block ×4, first 2 shown]
	global_wb scope:SCOPE_SE
	s_wait_storecnt 0x0
	s_barrier_signal -1
	s_barrier_wait -1
	global_inv scope:SCOPE_SE
	ds_store_b128 v114, v[0:3]
	ds_store_b128 v114, v[42:45] offset:800
	ds_store_b128 v114, v[46:49] offset:1600
	ds_store_b128 v249, v[4:7]
	ds_store_b128 v249, v[50:53] offset:800
	ds_store_b128 v249, v[54:57] offset:1600
	;; [unrolled: 3-line block ×10, first 2 shown]
	v_mul_lo_u16 v6, 0x96, v87
	v_add_co_u32 v4, s0, s8, v84
	v_lshrrev_b32_e32 v91, 22, v111
	s_wait_alu 0xf1ff
	v_add_co_ci_u32_e64 v5, s0, s9, v85, s0
	v_sub_nc_u16 v6, v216, v6
	v_lshrrev_b32_e32 v85, 22, v115
	v_mul_lo_u16 v7, 0x96, v89
	v_lshrrev_b32_e32 v92, 22, v215
	global_wb scope:SCOPE_SE
	s_wait_dscnt 0x0
	s_barrier_signal -1
	s_barrier_wait -1
	global_inv scope:SCOPE_SE
	s_clause 0x1
	global_load_b128 v[40:43], v[4:5], off offset:2240
	global_load_b128 v[36:39], v[4:5], off offset:2256
	v_and_b32_e32 v84, 0xffff, v6
	v_mul_lo_u16 v6, 0x96, v91
	v_sub_nc_u16 v7, v83, v7
	v_mul_lo_u16 v5, 0x96, v85
	v_mul_lo_u16 v8, 0x96, v92
	v_lshrrev_b32_e32 v93, 22, v237
	v_lshlrev_b32_e32 v4, 5, v84
	v_sub_nc_u16 v6, v254, v6
	v_and_b32_e32 v94, 0xffff, v7
	v_sub_nc_u16 v5, v122, v5
	v_sub_nc_u16 v8, v128, v8
	v_lshrrev_b32_e32 v95, 22, v88
	s_clause 0x1
	global_load_b128 v[60:63], v4, s[8:9] offset:2240
	global_load_b128 v[68:71], v4, s[8:9] offset:2256
	v_and_b32_e32 v96, 0xffff, v6
	v_lshlrev_b32_e32 v6, 5, v94
	v_mul_lo_u16 v4, 0x96, v93
	v_and_b32_e32 v97, 0xffff, v5
	v_and_b32_e32 v98, 0xffff, v8
	v_lshrrev_b32_e32 v7, 22, v241
	v_lshlrev_b32_e32 v5, 5, v96
	s_clause 0x1
	global_load_b128 v[72:75], v6, s[8:9] offset:2240
	global_load_b128 v[64:67], v6, s[8:9] offset:2256
	v_mul_lo_u16 v6, 0x96, v95
	v_dual_mov_b32 v252, v128 :: v_dual_lshlrev_b32 v9, 5, v97
	v_sub_nc_u16 v4, v117, v4
	v_lshlrev_b32_e32 v21, 5, v98
	scratch_store_b32 off, v83, off offset:16 ; 4-byte Folded Spill
	s_clause 0x4
	global_load_b128 v[16:19], v[124:125], off offset:2240
	global_load_b128 v[12:15], v9, s[8:9] offset:2240
	global_load_b128 v[0:3], v[124:125], off offset:2256
	global_load_b128 v[52:55], v5, s[8:9] offset:2240
	global_load_b128 v[44:47], v5, s[8:9] offset:2256
	v_mul_lo_u16 v20, 0x96, v7
	v_and_b32_e32 v99, 0xffff, v4
	v_sub_nc_u16 v22, v123, v6
	s_clause 0x1
	global_load_b128 v[4:7], v9, s[8:9] offset:2256
	global_load_b128 v[8:11], v21, s[8:9] offset:2240
	scratch_load_b32 v82, off, off offset:12 th:TH_LOAD_LU ; 4-byte Folded Reload
	v_dual_mov_b32 v251, v127 :: v_dual_lshlrev_b32 v28, 5, v99
	v_and_b32_e32 v100, 0xffff, v22
	v_dual_mov_b32 v255, v117 :: v_dual_lshlrev_b32 v102, 1, v255
	s_delay_alu instid0(VALU_DEP_3) | instskip(SKIP_1) | instid1(VALU_DEP_4)
	v_cmp_lt_u32_e64 s0, 14, v251
	v_subrev_nc_u32_e32 v88, 45, v251
	v_lshlrev_b32_e32 v30, 5, v100
	v_dual_mov_b32 v105, v81 :: v_dual_lshlrev_b32 v104, 1, v216
	s_wait_alu 0xf1ff
	v_cndmask_b32_e64 v90, 0, 0x1c20, s0
	v_cmp_gt_u32_e64 s0, 45, v251
	v_dual_mov_b32 v108, v81 :: v_dual_add_nc_u32 v107, 0xb4, v80
	v_and_b32_e32 v110, 0xffff, v255
	v_and_b32_e32 v111, 0xffff, v123
	s_wait_alu 0xf1ff
	v_cndmask_b32_e64 v127, v88, v83, s0
	v_dual_mov_b32 v103, v81 :: v_dual_mov_b32 v106, v81
	v_lshlrev_b64_e32 v[186:187], 4, v[104:105]
	v_add_nc_u32_e32 v80, 0x1c2, v80
	s_delay_alu instid0(VALU_DEP_4)
	v_lshlrev_b32_e32 v105, 1, v127
	v_and_b32_e32 v109, 0xffff, v252
	v_lshlrev_b64_e32 v[188:189], 4, v[107:108]
	v_mul_u32_u24_e32 v107, 0x91a3, v110
	v_mul_u32_u24_e32 v108, 0x91a3, v111
	v_lshlrev_b64_e32 v[184:185], 4, v[102:103]
	v_lshlrev_b64_e32 v[192:193], 4, v[105:106]
	;; [unrolled: 1-line block ×3, first 2 shown]
	v_mul_u32_u24_e32 v80, 0x91a3, v109
	v_lshrrev_b32_e32 v122, 24, v107
	v_lshrrev_b32_e32 v247, 24, v108
	v_add3_u32 v246, 0, v90, v86
	v_mul_u32_u24_e32 v128, 0x1c20, v87
	v_mul_u32_u24_e32 v248, 0x1c20, v85
	;; [unrolled: 1-line block ×3, first 2 shown]
	v_lshlrev_b32_e32 v95, 4, v84
	v_mul_u32_u24_e32 v129, 0x1c20, v91
	v_mul_u32_u24_e32 v249, 0x1c20, v92
	;; [unrolled: 1-line block ×3, first 2 shown]
	v_lshlrev_b32_e32 v130, 4, v94
	v_lshlrev_b32_e32 v131, 4, v96
	;; [unrolled: 1-line block ×4, first 2 shown]
	v_add3_u32 v83, 0, v128, v95
	v_lshlrev_b32_e32 v254, 4, v99
	v_mul_u32_u24_e32 v89, 0x1c20, v89
	v_add3_u32 v116, 0, v129, v131
	v_lshrrev_b32_e32 v126, 24, v80
	s_delay_alu instid0(VALU_DEP_3)
	v_add3_u32 v89, 0, v89, v130
	s_wait_loadcnt 0x0
	v_sub_nc_u16 v29, v82, v20
	s_clause 0x3
	global_load_b128 v[20:23], v21, s[8:9] offset:2256
	global_load_b128 v[24:27], v28, s[8:9] offset:2240
	;; [unrolled: 1-line block ×4, first 2 shown]
	v_dual_mov_b32 v117, v82 :: v_dual_lshlrev_b32 v82, 4, v100
	v_and_b32_e32 v101, 0xffff, v29
	s_delay_alu instid0(VALU_DEP_2) | instskip(NEXT) | instid1(VALU_DEP_2)
	v_and_b32_e32 v112, 0xffff, v117
	v_lshlrev_b32_e32 v76, 5, v101
	s_clause 0x2
	global_load_b128 v[28:31], v30, s[8:9] offset:2256
	global_load_b128 v[56:59], v76, s[8:9] offset:2240
	global_load_b128 v[76:79], v76, s[8:9] offset:2256
	ds_load_b128 v[102:105], v238 offset:21600
	ds_load_b128 v[95:98], v238 offset:47520
	;; [unrolled: 1-line block ×4, first 2 shown]
	v_mul_u32_u24_e32 v245, 0x91a3, v112
	ds_load_b128 v[110:113], v238 offset:23760
	ds_load_b128 v[91:94], v238 offset:25920
	ds_load_b128 v[128:131], v238 offset:28080
	ds_load_b128 v[132:135], v238 offset:49680
	ds_load_b128 v[136:139], v238 offset:30240
	ds_load_b128 v[140:143], v238 offset:32400
	ds_load_b128 v[144:147], v238 offset:51840
	ds_load_b128 v[148:151], v238 offset:54000
	ds_load_b128 v[152:155], v238 offset:34560
	ds_load_b128 v[156:159], v238 offset:36720
	ds_load_b128 v[160:163], v238 offset:56160
	ds_load_b128 v[164:167], v238 offset:58320
	ds_load_b128 v[168:171], v238 offset:38880
	ds_load_b128 v[172:175], v238 offset:41040
	ds_load_b128 v[176:179], v238 offset:60480
	ds_load_b128 v[180:183], v238 offset:62640
	v_lshl_add_u32 v80, v101, 4, 0
	s_wait_dscnt 0x13
	v_mul_f64_e32 v[114:115], v[104:105], v[18:19]
	v_mul_f64_e32 v[18:19], v[102:103], v[18:19]
	s_wait_dscnt 0x11
	v_mul_f64_e32 v[99:100], v[108:109], v[2:3]
	v_mul_f64_e32 v[2:3], v[106:107], v[2:3]
	s_wait_dscnt 0x10
	v_mul_f64_e32 v[196:197], v[86:87], v[38:39]
	s_wait_dscnt 0xf
	;; [unrolled: 2-line block ×3, first 2 shown]
	v_mul_f64_e32 v[198:199], v[93:94], v[62:63]
	v_mul_f64_e32 v[200:201], v[97:98], v[70:71]
	;; [unrolled: 1-line block ×6, first 2 shown]
	s_wait_dscnt 0xd
	v_mul_f64_e32 v[202:203], v[130:131], v[74:75]
	v_mul_f64_e32 v[74:75], v[128:129], v[74:75]
	s_wait_dscnt 0xc
	v_mul_f64_e32 v[204:205], v[134:135], v[66:67]
	v_mul_f64_e32 v[66:67], v[132:133], v[66:67]
	;; [unrolled: 3-line block ×4, first 2 shown]
	s_wait_dscnt 0x7
	v_mul_f64_e32 v[210:211], v[154:155], v[10:11]
	v_fma_f64 v[101:102], v[102:103], v[16:17], -v[114:115]
	v_fma_f64 v[18:19], v[104:105], v[16:17], v[18:19]
	v_mul_f64_e32 v[103:104], v[146:147], v[46:47]
	v_mul_f64_e32 v[46:47], v[144:145], v[46:47]
	;; [unrolled: 1-line block ×3, first 2 shown]
	v_fma_f64 v[99:100], v[106:107], v[0:1], -v[99:100]
	v_fma_f64 v[105:106], v[108:109], v[0:1], v[2:3]
	v_mul_f64_e32 v[107:108], v[140:141], v[14:15]
	v_fma_f64 v[109:110], v[110:111], v[40:41], -v[194:195]
	v_mul_f64_e32 v[194:195], v[152:153], v[10:11]
	v_fma_f64 v[84:85], v[84:85], v[36:37], -v[196:197]
	v_fma_f64 v[91:92], v[91:92], v[60:61], -v[198:199]
	;; [unrolled: 1-line block ×3, first 2 shown]
	v_fma_f64 v[70:71], v[97:98], v[68:69], v[70:71]
	v_fma_f64 v[111:112], v[112:113], v[40:41], v[42:43]
	;; [unrolled: 1-line block ×4, first 2 shown]
	v_fma_f64 v[128:129], v[128:129], v[72:73], -v[202:203]
	v_fma_f64 v[72:73], v[130:131], v[72:73], v[74:75]
	v_fma_f64 v[74:75], v[132:133], v[64:65], -v[204:205]
	v_fma_f64 v[130:131], v[134:135], v[64:65], v[66:67]
	;; [unrolled: 2-line block ×4, first 2 shown]
	v_fma_f64 v[4:5], v[152:153], v[8:9], -v[210:211]
	ds_load_b128 v[0:3], v238
	ds_load_b128 v[14:17], v238 offset:2160
	v_fma_f64 v[103:104], v[144:145], v[44:45], -v[103:104]
	v_fma_f64 v[46:47], v[146:147], v[44:45], v[46:47]
	v_fma_f64 v[113:114], v[140:141], v[12:13], -v[114:115]
	v_add_f64_e64 v[148:149], v[18:19], -v[105:106]
	v_fma_f64 v[107:108], v[142:143], v[12:13], v[107:108]
	s_wait_dscnt 0x1
	v_add_f64_e32 v[146:147], v[0:1], v[101:102]
	v_fma_f64 v[6:7], v[154:155], v[8:9], v[194:195]
	s_wait_dscnt 0x0
	v_add_f64_e32 v[154:155], v[14:15], v[109:110]
	v_add_f64_e32 v[152:153], v[16:17], v[111:112]
	;; [unrolled: 1-line block ×3, first 2 shown]
	v_add_f64_e64 v[111:112], v[111:112], -v[86:87]
	s_wait_loadcnt 0x6
	v_mul_f64_e32 v[212:213], v[162:163], v[22:23]
	v_mul_f64_e32 v[22:23], v[160:161], v[22:23]
	s_wait_loadcnt 0x5
	v_mul_f64_e32 v[214:215], v[158:159], v[26:27]
	v_mul_f64_e32 v[26:27], v[156:157], v[26:27]
	s_wait_loadcnt 0x4
	v_mul_f64_e32 v[196:197], v[166:167], v[50:51]
	v_mul_f64_e32 v[216:217], v[164:165], v[50:51]
	s_wait_loadcnt 0x3
	v_mul_f64_e32 v[218:219], v[170:171], v[34:35]
	v_mul_f64_e32 v[198:199], v[168:169], v[34:35]
	ds_load_b128 v[34:37], v238 offset:4320
	ds_load_b128 v[38:41], v238 offset:6480
	s_wait_loadcnt 0x2
	v_mul_f64_e32 v[220:221], v[178:179], v[30:31]
	v_mul_f64_e32 v[30:31], v[176:177], v[30:31]
	s_wait_loadcnt 0x1
	v_mul_f64_e32 v[222:223], v[174:175], v[58:59]
	v_mul_f64_e32 v[97:98], v[172:173], v[58:59]
	;; [unrolled: 3-line block ×3, first 2 shown]
	ds_load_b128 v[50:53], v238 offset:8640
	ds_load_b128 v[58:61], v238 offset:10800
	;; [unrolled: 1-line block ×6, first 2 shown]
	global_wb scope:SCOPE_SE
	s_wait_storecnt_dscnt 0x0
	s_barrier_signal -1
	s_barrier_wait -1
	global_inv scope:SCOPE_SE
	v_fma_f64 v[8:9], v[160:161], v[20:21], -v[212:213]
	v_fma_f64 v[138:139], v[162:163], v[20:21], v[22:23]
	v_fma_f64 v[20:21], v[156:157], v[24:25], -v[214:215]
	v_fma_f64 v[22:23], v[158:159], v[24:25], v[26:27]
	;; [unrolled: 2-line block ×4, first 2 shown]
	v_add_f64_e32 v[32:33], v[101:102], v[99:100]
	v_add_f64_e32 v[156:157], v[91:92], v[95:96]
	;; [unrolled: 1-line block ×4, first 2 shown]
	v_fma_f64 v[142:143], v[176:177], v[28:29], -v[220:221]
	v_fma_f64 v[144:145], v[178:179], v[28:29], v[30:31]
	v_fma_f64 v[28:29], v[172:173], v[56:57], -v[222:223]
	v_fma_f64 v[30:31], v[174:175], v[56:57], v[97:98]
	;; [unrolled: 2-line block ×3, first 2 shown]
	v_add_f64_e32 v[78:79], v[18:19], v[105:106]
	v_add_f64_e32 v[97:98], v[2:3], v[18:19]
	;; [unrolled: 1-line block ×11, first 2 shown]
	v_add_f64_e64 v[180:181], v[54:55], -v[46:47]
	v_add_f64_e32 v[54:55], v[113:114], v[134:135]
	v_add_f64_e32 v[182:183], v[107:108], v[136:137]
	;; [unrolled: 1-line block ×6, first 2 shown]
	v_add_f64_e64 v[101:102], v[101:102], -v[99:100]
	v_add_f64_e64 v[109:110], v[109:110], -v[84:85]
	v_add_f64_e32 v[198:199], v[4:5], v[8:9]
	v_add_f64_e32 v[200:201], v[6:7], v[138:139]
	;; [unrolled: 1-line block ×8, first 2 shown]
	v_fma_f64 v[228:229], v[32:33], -0.5, v[0:1]
	v_add_f64_e32 v[0:1], v[146:147], v[99:100]
	v_add_f64_e64 v[93:94], v[93:94], -v[70:71]
	v_add_f64_e64 v[91:92], v[91:92], -v[95:96]
	v_add_f64_e32 v[218:219], v[24:25], v[142:143]
	v_add_f64_e32 v[220:221], v[26:27], v[144:145]
	v_add_f64_e64 v[206:207], v[6:7], -v[138:139]
	v_add_f64_e64 v[208:209], v[4:5], -v[8:9]
	v_add_f64_e32 v[226:227], v[28:29], v[56:57]
	v_add_f64_e32 v[230:231], v[30:31], v[76:77]
	v_fma_f64 v[78:79], v[78:79], -0.5, v[2:3]
	v_add_f64_e32 v[2:3], v[97:98], v[105:106]
	v_fma_f64 v[99:100], v[18:19], -0.5, v[14:15]
	v_fma_f64 v[105:106], v[150:151], -0.5, v[16:17]
	v_add_f64_e32 v[97:98], v[66:67], v[28:29]
	v_add_f64_e32 v[6:7], v[152:153], v[86:87]
	;; [unrolled: 1-line block ×3, first 2 shown]
	v_fma_f64 v[84:85], v[156:157], -0.5, v[34:35]
	v_fma_f64 v[86:87], v[158:159], -0.5, v[36:37]
	v_add_f64_e32 v[170:171], v[38:39], v[128:129]
	v_add_f64_e64 v[72:73], v[72:73], -v[130:131]
	v_add_f64_e64 v[128:129], v[128:129], -v[74:75]
	v_add_f64_e32 v[16:17], v[160:161], v[70:71]
	v_add_f64_e32 v[14:15], v[162:163], v[95:96]
	v_fma_f64 v[70:71], v[164:165], -0.5, v[38:39]
	v_fma_f64 v[95:96], v[166:167], -0.5, v[40:41]
	v_add_f64_e64 v[132:133], v[132:133], -v[103:104]
	v_add_f64_e32 v[232:233], v[68:69], v[30:31]
	v_add_f64_e64 v[234:235], v[20:21], -v[140:141]
	v_add_f64_e32 v[20:21], v[168:169], v[130:131]
	v_fma_f64 v[130:131], v[172:173], -0.5, v[50:51]
	v_fma_f64 v[150:151], v[174:175], -0.5, v[52:53]
	v_add_f64_e64 v[107:108], v[107:108], -v[136:137]
	v_add_f64_e64 v[113:114], v[113:114], -v[134:135]
	;; [unrolled: 1-line block ×3, first 2 shown]
	v_add_f64_e32 v[22:23], v[178:179], v[103:104]
	v_fma_f64 v[103:104], v[54:55], -0.5, v[58:59]
	v_fma_f64 v[152:153], v[182:183], -0.5, v[60:61]
	v_add_f64_e64 v[236:237], v[26:27], -v[144:145]
	v_add_f64_e64 v[243:244], v[28:29], -v[56:57]
	v_add_f64_e32 v[28:29], v[194:195], v[136:137]
	v_add_f64_e32 v[26:27], v[196:197], v[134:135]
	v_fma_f64 v[134:135], v[198:199], -0.5, v[42:43]
	v_fma_f64 v[136:137], v[200:201], -0.5, v[44:45]
	v_add_f64_e32 v[32:33], v[202:203], v[138:139]
	v_fma_f64 v[138:139], v[210:211], -0.5, v[62:63]
	v_fma_f64 v[154:155], v[212:213], -0.5, v[64:65]
	v_add_f64_e64 v[239:240], v[24:25], -v[142:143]
	v_add_f64_e32 v[34:35], v[216:217], v[140:141]
	v_fma_f64 v[140:141], v[218:219], -0.5, v[10:11]
	v_fma_f64 v[12:13], v[220:221], -0.5, v[12:13]
	v_add_f64_e64 v[241:242], v[30:31], -v[76:77]
	v_add_f64_e32 v[30:31], v[204:205], v[8:9]
	v_add_f64_e32 v[10:11], v[222:223], v[144:145]
	;; [unrolled: 1-line block ×3, first 2 shown]
	v_fma_f64 v[142:143], v[226:227], -0.5, v[66:67]
	v_fma_f64 v[144:145], v[230:231], -0.5, v[68:69]
	v_fma_f64 v[42:43], v[148:149], s[4:5], v[228:229]
	v_fma_f64 v[44:45], v[101:102], s[10:11], v[78:79]
	v_add_f64_e32 v[24:25], v[176:177], v[46:47]
	v_add_f64_e32 v[36:37], v[214:215], v[48:49]
	v_fma_f64 v[46:47], v[148:149], s[10:11], v[228:229]
	v_fma_f64 v[48:49], v[101:102], s[4:5], v[78:79]
	;; [unrolled: 1-line block ×4, first 2 shown]
	v_add_f64_e32 v[38:39], v[97:98], v[56:57]
	v_fma_f64 v[54:55], v[111:112], s[10:11], v[99:100]
	v_fma_f64 v[56:57], v[109:110], s[4:5], v[105:106]
	;; [unrolled: 1-line block ×6, first 2 shown]
	v_add_f64_e32 v[18:19], v[170:171], v[74:75]
	v_fma_f64 v[66:67], v[72:73], s[4:5], v[70:71]
	v_fma_f64 v[68:69], v[128:129], s[10:11], v[95:96]
	;; [unrolled: 1-line block ×4, first 2 shown]
	v_add_f64_e32 v[40:41], v[232:233], v[76:77]
	v_fma_f64 v[74:75], v[180:181], s[4:5], v[130:131]
	v_fma_f64 v[76:77], v[132:133], s[10:11], v[150:151]
	;; [unrolled: 1-line block ×24, first 2 shown]
	v_add3_u32 v12, 0, v248, v88
	v_add3_u32 v13, 0, v249, v253
	;; [unrolled: 1-line block ×4, first 2 shown]
	ds_store_b128 v238, v[0:3]
	ds_store_b128 v238, v[42:45] offset:2400
	ds_store_b128 v238, v[46:49] offset:4800
	ds_store_b128 v246, v[4:7]
	ds_store_b128 v246, v[50:53] offset:2400
	ds_store_b128 v246, v[54:57] offset:4800
	ds_store_b128 v83, v[14:17]
	ds_store_b128 v83, v[58:61] offset:2400
	ds_store_b128 v83, v[62:65] offset:4800
	ds_store_b128 v89, v[18:21]
	ds_store_b128 v89, v[66:69] offset:2400
	ds_store_b128 v89, v[70:73] offset:4800
	ds_store_b128 v116, v[22:25]
	ds_store_b128 v116, v[74:77] offset:2400
	ds_store_b128 v116, v[84:87] offset:4800
	ds_store_b128 v12, v[26:29]
	ds_store_b128 v12, v[91:94] offset:2400
	ds_store_b128 v12, v[95:98] offset:4800
	ds_store_b128 v13, v[30:33]
	ds_store_b128 v13, v[99:102] offset:2400
	ds_store_b128 v13, v[103:106] offset:4800
	ds_store_b128 v78, v[34:37]
	ds_store_b128 v78, v[107:110] offset:2400
	ds_store_b128 v78, v[111:114] offset:4800
	ds_store_b128 v79, v[8:11]
	ds_store_b128 v79, v[128:131] offset:2400
	ds_store_b128 v79, v[132:135] offset:4800
	ds_store_b128 v80, v[38:41] offset:57600
	ds_store_b128 v80, v[136:139] offset:60000
	;; [unrolled: 1-line block ×3, first 2 shown]
	v_lshrrev_b32_e32 v10, 24, v245
	v_mul_lo_u16 v4, 0x1c2, v126
	v_mul_lo_u16 v5, 0x1c2, v122
	;; [unrolled: 1-line block ×3, first 2 shown]
	v_add_co_u32 v86, s0, s8, v184
	v_mul_lo_u16 v16, 0x1c2, v10
	s_wait_alu 0xf1ff
	v_add_co_ci_u32_e64 v87, s0, s9, v185, s0
	v_add_co_u32 v84, s0, s8, v186
	v_sub_nc_u16 v11, v252, v4
	v_sub_nc_u16 v13, v255, v5
	;; [unrolled: 1-line block ×3, first 2 shown]
	s_wait_alu 0xf1ff
	v_add_co_ci_u32_e64 v85, s0, s9, v187, s0
	v_sub_nc_u16 v16, v117, v16
	v_add_co_u32 v0, s0, s8, v188
	s_wait_alu 0xf1ff
	v_add_co_ci_u32_e64 v1, s0, s9, v189, s0
	v_add_co_u32 v2, s0, s8, v192
	v_and_b32_e32 v95, 0xffff, v11
	v_and_b32_e32 v92, 0xffff, v13
	;; [unrolled: 1-line block ×4, first 2 shown]
	s_wait_alu 0xf1ff
	v_add_co_ci_u32_e64 v3, s0, s9, v193, s0
	v_add_co_u32 v8, s0, s8, v190
	s_wait_alu 0xf1ff
	v_add_co_ci_u32_e64 v9, s0, s9, v191, s0
	v_lshlrev_b32_e32 v18, 5, v95
	v_lshlrev_b32_e32 v17, 5, v92
	;; [unrolled: 1-line block ×4, first 2 shown]
	global_wb scope:SCOPE_SE
	s_wait_dscnt 0x0
	s_barrier_signal -1
	s_barrier_wait -1
	global_inv scope:SCOPE_SE
	s_clause 0x13
	global_load_b128 v[72:75], v[124:125], off offset:7040
	global_load_b128 v[60:63], v[86:87], off offset:7056
	;; [unrolled: 1-line block ×9, first 2 shown]
	global_load_b128 v[24:27], v18, s[8:9] offset:7056
	global_load_b128 v[0:3], v[0:1], off offset:7056
	global_load_b128 v[12:15], v[8:9], off offset:7040
	;; [unrolled: 1-line block ×3, first 2 shown]
	global_load_b128 v[28:31], v18, s[8:9] offset:7040
	global_load_b128 v[36:39], v17, s[8:9] offset:7040
	;; [unrolled: 1-line block ×7, first 2 shown]
	scratch_load_b32 v80, off, off offset:16 th:TH_LOAD_LU ; 4-byte Folded Reload
	ds_load_b128 v[98:101], v238 offset:21600
	ds_load_b128 v[106:109], v238 offset:23760
	v_cmp_lt_u32_e64 s0, 44, v251
	ds_load_b128 v[102:105], v238 offset:43200
	v_mov_b32_e32 v253, v123
	v_lshlrev_b32_e32 v83, 4, v127
	v_mul_u32_u24_e32 v97, 0x5460, v126
	s_wait_alu 0xf1ff
	v_cndmask_b32_e64 v82, 0, 0x5460, s0
	s_delay_alu instid0(VALU_DEP_1)
	v_add3_u32 v96, 0, v82, v83
	s_wait_loadcnt_dscnt 0x1402
	v_mul_f64_e32 v[122:123], v[100:101], v[74:75]
	v_mul_f64_e32 v[74:75], v[98:99], v[74:75]
	s_wait_loadcnt_dscnt 0x1101
	v_mul_f64_e32 v[202:203], v[108:109], v[70:71]
	v_mul_f64_e32 v[70:71], v[106:107], v[70:71]
	s_wait_loadcnt 0x0
	v_lshlrev_b32_e32 v80, 1, v80
	s_delay_alu instid0(VALU_DEP_1)
	v_lshlrev_b64_e32 v[110:111], 4, v[80:81]
	scratch_load_b32 v80, off, off offset:8 th:TH_LOAD_LU ; 4-byte Folded Reload
	v_add_co_u32 v90, s0, s8, v110
	s_wait_alu 0xf1ff
	v_add_co_ci_u32_e64 v91, s0, s9, v111, s0
	ds_load_b128 v[110:113], v238 offset:45360
	s_wait_dscnt 0x1
	v_mul_f64_e32 v[200:201], v[104:105], v[66:67]
	v_mul_f64_e32 v[66:67], v[102:103], v[66:67]
	v_fma_f64 v[98:99], v[98:99], v[72:73], -v[122:123]
	v_fma_f64 v[72:73], v[100:101], v[72:73], v[74:75]
	v_fma_f64 v[106:107], v[106:107], v[68:69], -v[202:203]
	v_fma_f64 v[70:71], v[108:109], v[68:69], v[70:71]
	s_wait_dscnt 0x0
	v_mul_f64_e32 v[204:205], v[112:113], v[62:63]
	v_mul_f64_e32 v[62:63], v[110:111], v[62:63]
	v_fma_f64 v[102:103], v[102:103], v[64:65], -v[200:201]
	v_fma_f64 v[104:105], v[104:105], v[64:65], v[66:67]
	s_delay_alu instid0(VALU_DEP_4) | instskip(NEXT) | instid1(VALU_DEP_4)
	v_fma_f64 v[110:111], v[110:111], v[60:61], -v[204:205]
	v_fma_f64 v[112:113], v[112:113], v[60:61], v[62:63]
	s_wait_loadcnt 0x0
	v_lshlrev_b32_e32 v80, 1, v80
	s_delay_alu instid0(VALU_DEP_1)
	v_lshlrev_b64_e32 v[88:89], 4, v[80:81]
	scratch_load_b32 v80, off, off th:TH_LOAD_LU ; 4-byte Folded Reload
	ds_load_b128 v[128:131], v238 offset:25920
	ds_load_b128 v[132:135], v238 offset:28080
	;; [unrolled: 1-line block ×16, first 2 shown]
	ds_load_b128 v[192:195], v238
	ds_load_b128 v[196:199], v238 offset:2160
	s_wait_dscnt 0x11
	v_mul_f64_e32 v[206:207], v[130:131], v[58:59]
	v_mul_f64_e32 v[58:59], v[128:129], v[58:59]
	s_wait_dscnt 0xf
	v_mul_f64_e32 v[208:209], v[138:139], v[54:55]
	v_mul_f64_e32 v[54:55], v[136:137], v[54:55]
	v_mul_f64_e32 v[210:211], v[134:135], v[46:47]
	v_mul_f64_e32 v[46:47], v[132:133], v[46:47]
	s_wait_dscnt 0xe
	v_mul_f64_e32 v[212:213], v[142:143], v[42:43]
	v_mul_f64_e32 v[214:215], v[140:141], v[42:43]
	s_wait_dscnt 0xd
	v_mul_f64_e32 v[216:217], v[146:147], v[6:7]
	v_mul_f64_e32 v[6:7], v[144:145], v[6:7]
	s_wait_dscnt 0xb
	v_mul_f64_e32 v[218:219], v[154:155], v[2:3]
	v_mul_f64_e32 v[220:221], v[152:153], v[2:3]
	v_mul_f64_e32 v[74:75], v[150:151], v[14:15]
	v_mul_f64_e32 v[14:15], v[148:149], v[14:15]
	s_wait_dscnt 0xa
	v_mul_f64_e32 v[100:101], v[158:159], v[10:11]
	v_mul_f64_e32 v[10:11], v[156:157], v[10:11]
	s_wait_dscnt 0x9
	v_mul_f64_e32 v[122:123], v[162:163], v[30:31]
	v_mul_f64_e32 v[30:31], v[160:161], v[30:31]
	s_wait_dscnt 0x7
	v_mul_f64_e32 v[200:201], v[170:171], v[26:27]
	v_mul_f64_e32 v[26:27], v[168:169], v[26:27]
	v_mul_f64_e32 v[108:109], v[166:167], v[38:39]
	v_mul_f64_e32 v[202:203], v[164:165], v[38:39]
	s_wait_dscnt 0x6
	v_mul_f64_e32 v[222:223], v[174:175], v[34:35]
	v_mul_f64_e32 v[34:35], v[172:173], v[34:35]
	s_wait_dscnt 0x5
	v_mul_f64_e32 v[204:205], v[178:179], v[22:23]
	v_mul_f64_e32 v[22:23], v[176:177], v[22:23]
	s_wait_dscnt 0x3
	v_mul_f64_e32 v[224:225], v[186:187], v[18:19]
	v_mul_f64_e32 v[18:19], v[184:185], v[18:19]
	;; [unrolled: 1-line block ×3, first 2 shown]
	s_wait_dscnt 0x2
	v_mul_f64_e32 v[228:229], v[190:191], v[78:79]
	v_mul_f64_e32 v[78:79], v[188:189], v[78:79]
	v_fma_f64 v[128:129], v[128:129], v[56:57], -v[206:207]
	v_mul_f64_e32 v[206:207], v[182:183], v[50:51]
	v_fma_f64 v[130:131], v[130:131], v[56:57], v[58:59]
	v_fma_f64 v[136:137], v[136:137], v[52:53], -v[208:209]
	v_fma_f64 v[138:139], v[138:139], v[52:53], v[54:55]
	v_fma_f64 v[132:133], v[132:133], v[44:45], -v[210:211]
	;; [unrolled: 2-line block ×13, first 2 shown]
	v_fma_f64 v[150:151], v[186:187], v[16:17], v[18:19]
	v_fma_f64 v[18:19], v[182:183], v[48:49], v[226:227]
	ds_load_b128 v[50:53], v238 offset:4320
	ds_load_b128 v[54:57], v238 offset:6480
	;; [unrolled: 1-line block ×4, first 2 shown]
	v_add_f64_e32 v[22:23], v[98:99], v[102:103]
	v_add_f64_e32 v[28:29], v[72:73], v[104:105]
	ds_load_b128 v[38:41], v238 offset:12960
	ds_load_b128 v[62:65], v238 offset:15120
	s_wait_dscnt 0x7
	v_add_f64_e32 v[36:37], v[192:193], v[98:99]
	v_add_f64_e32 v[152:153], v[70:71], v[112:113]
	;; [unrolled: 1-line block ×3, first 2 shown]
	s_wait_dscnt 0x6
	v_add_f64_e32 v[156:157], v[196:197], v[106:107]
	v_fma_f64 v[16:17], v[180:181], v[48:49], -v[206:207]
	v_fma_f64 v[48:49], v[188:189], v[76:77], -v[228:229]
	v_fma_f64 v[76:77], v[190:191], v[76:77], v[78:79]
	v_add_f64_e64 v[78:79], v[98:99], -v[102:103]
	v_add_f64_e32 v[98:99], v[106:107], v[110:111]
	v_add_f64_e32 v[158:159], v[128:129], v[136:137]
	;; [unrolled: 1-line block ×3, first 2 shown]
	ds_load_b128 v[2:5], v238 offset:17280
	ds_load_b128 v[66:69], v238 offset:19440
	v_add_f64_e32 v[154:155], v[198:199], v[70:71]
	v_add_f64_e32 v[166:167], v[132:133], v[134:135]
	s_wait_dscnt 0x7
	v_add_f64_e32 v[164:165], v[50:51], v[128:129]
	v_add_f64_e32 v[168:169], v[46:47], v[140:141]
	;; [unrolled: 1-line block ×3, first 2 shown]
	s_wait_dscnt 0x6
	v_add_f64_e32 v[170:171], v[56:57], v[46:47]
	v_add_f64_e32 v[172:173], v[54:55], v[132:133]
	v_add_f64_e64 v[174:175], v[46:47], -v[140:141]
	v_add_f64_e32 v[46:47], v[142:143], v[144:145]
	v_add_f64_e32 v[176:177], v[6:7], v[0:1]
	s_wait_dscnt 0x5
	v_add_f64_e32 v[180:181], v[42:43], v[142:143]
	v_add_f64_e32 v[184:185], v[74:75], v[100:101]
	;; [unrolled: 1-line block ×3, first 2 shown]
	s_wait_dscnt 0x4
	v_add_f64_e32 v[188:189], v[60:61], v[12:13]
	v_add_f64_e32 v[190:191], v[58:59], v[74:75]
	v_add_f64_e64 v[202:203], v[74:75], -v[100:101]
	v_add_f64_e32 v[74:75], v[8:9], v[30:31]
	v_add_f64_e32 v[204:205], v[10:11], v[122:123]
	s_wait_dscnt 0x3
	v_add_f64_e32 v[206:207], v[40:41], v[10:11]
	v_add_f64_e32 v[214:215], v[14:15], v[108:109]
	;; [unrolled: 1-line block ×5, first 2 shown]
	s_wait_dscnt 0x1
	v_add_f64_e32 v[230:231], v[4:5], v[20:21]
	v_add_f64_e64 v[72:73], v[72:73], -v[104:105]
	v_fma_f64 v[192:193], v[22:23], -0.5, v[192:193]
	v_fma_f64 v[194:195], v[28:29], -0.5, v[194:195]
	v_add_f64_e64 v[70:71], v[70:71], -v[112:113]
	v_add_f64_e64 v[106:107], v[106:107], -v[110:111]
	v_add_f64_e32 v[178:179], v[44:45], v[6:7]
	s_wait_dscnt 0x0
	v_add_f64_e32 v[245:246], v[66:67], v[16:17]
	v_add_f64_e32 v[239:240], v[16:17], v[48:49]
	;; [unrolled: 1-line block ×3, first 2 shown]
	v_add_f64_e64 v[182:183], v[6:7], -v[0:1]
	v_add_f64_e32 v[6:7], v[36:37], v[102:103]
	v_fma_f64 v[98:99], v[98:99], -0.5, v[196:197]
	v_fma_f64 v[102:103], v[152:153], -0.5, v[198:199]
	v_add_f64_e64 v[130:131], v[130:131], -v[138:139]
	v_add_f64_e64 v[128:129], v[128:129], -v[136:137]
	v_add_f64_e32 v[208:209], v[38:39], v[8:9]
	v_add_f64_e64 v[210:211], v[10:11], -v[122:123]
	v_add_f64_e64 v[212:213], v[8:9], -v[30:31]
	v_add_f64_e32 v[8:9], v[32:33], v[104:105]
	v_add_f64_e32 v[10:11], v[156:157], v[110:111]
	v_fma_f64 v[104:105], v[158:159], -0.5, v[50:51]
	v_fma_f64 v[110:111], v[160:161], -0.5, v[52:53]
	v_add_f64_e64 v[132:133], v[132:133], -v[134:135]
	v_add_f64_e64 v[200:201], v[12:13], -v[146:147]
	v_add_f64_e32 v[220:221], v[62:63], v[14:15]
	v_add_f64_e64 v[224:225], v[14:15], -v[108:109]
	v_add_f64_e32 v[12:13], v[154:155], v[112:113]
	v_add_f64_e32 v[14:15], v[164:165], v[136:137]
	v_fma_f64 v[112:113], v[166:167], -0.5, v[54:55]
	v_fma_f64 v[136:137], v[168:169], -0.5, v[56:57]
	v_add_f64_e64 v[142:143], v[142:143], -v[144:145]
	v_add_f64_e32 v[243:244], v[68:69], v[18:19]
	v_add_f64_e64 v[247:248], v[18:19], -v[76:77]
	v_add_f64_e64 v[249:250], v[16:17], -v[48:49]
	v_add_f64_e32 v[16:17], v[162:163], v[138:139]
	v_add_f64_e32 v[18:19], v[172:173], v[134:135]
	v_fma_f64 v[134:135], v[46:47], -0.5, v[42:43]
	v_fma_f64 v[138:139], v[176:177], -0.5, v[44:45]
	v_add_f64_e64 v[234:235], v[20:21], -v[150:151]
	v_add_f64_e32 v[20:21], v[170:171], v[140:141]
	v_add_f64_e32 v[22:23], v[180:181], v[144:145]
	v_fma_f64 v[140:141], v[184:185], -0.5, v[58:59]
	v_fma_f64 v[144:145], v[186:187], -0.5, v[60:61]
	v_add_f64_e32 v[218:219], v[64:65], v[24:25]
	v_add_f64_e32 v[28:29], v[188:189], v[146:147]
	v_fma_f64 v[146:147], v[74:75], -0.5, v[38:39]
	v_fma_f64 v[152:153], v[204:205], -0.5, v[40:41]
	v_add_f64_e64 v[222:223], v[24:25], -v[34:35]
	v_add_f64_e32 v[32:33], v[206:207], v[122:123]
	v_fma_f64 v[122:123], v[214:215], -0.5, v[62:63]
	v_fma_f64 v[154:155], v[216:217], -0.5, v[64:65]
	v_add_f64_e32 v[232:233], v[2:3], v[26:27]
	v_add_f64_e64 v[236:237], v[26:27], -v[148:149]
	v_fma_f64 v[156:157], v[226:227], -0.5, v[2:3]
	v_fma_f64 v[4:5], v[228:229], -0.5, v[4:5]
	v_add_f64_e32 v[2:3], v[230:231], v[150:151]
	v_fma_f64 v[150:151], v[239:240], -0.5, v[66:67]
	v_fma_f64 v[158:159], v[241:242], -0.5, v[68:69]
	v_add_f64_e32 v[38:39], v[245:246], v[48:49]
	v_fma_f64 v[46:47], v[72:73], s[10:11], v[192:193]
	v_fma_f64 v[48:49], v[78:79], s[4:5], v[194:195]
	;; [unrolled: 1-line block ×16, first 2 shown]
	v_add_f64_e32 v[24:25], v[178:179], v[0:1]
	v_add_f64_e32 v[26:27], v[190:191], v[100:101]
	;; [unrolled: 1-line block ×3, first 2 shown]
	v_fma_f64 v[74:75], v[182:183], s[4:5], v[134:135]
	v_fma_f64 v[76:77], v[142:143], s[10:11], v[138:139]
	;; [unrolled: 1-line block ×6, first 2 shown]
	v_add_f64_e32 v[36:37], v[218:219], v[34:35]
	v_add_f64_e32 v[34:35], v[220:221], v[108:109]
	v_fma_f64 v[106:107], v[200:201], s[10:11], v[140:141]
	v_fma_f64 v[108:109], v[202:203], s[4:5], v[144:145]
	v_add_f64_e32 v[30:31], v[208:209], v[30:31]
	v_fma_f64 v[110:111], v[210:211], s[4:5], v[146:147]
	v_fma_f64 v[112:113], v[212:213], s[10:11], v[152:153]
	;; [unrolled: 1-line block ×8, first 2 shown]
	v_add_f64_e32 v[0:1], v[232:233], v[148:149]
	v_fma_f64 v[140:141], v[234:235], s[4:5], v[156:157]
	v_fma_f64 v[142:143], v[236:237], s[10:11], v[4:5]
	;; [unrolled: 1-line block ×8, first 2 shown]
	v_lshl_add_u32 v4, v92, 4, 0
	v_lshl_add_u32 v5, v93, 4, 0
	;; [unrolled: 1-line block ×3, first 2 shown]
	global_wb scope:SCOPE_SE
	s_wait_loadcnt 0x0
	s_barrier_signal -1
	s_barrier_wait -1
	global_inv scope:SCOPE_SE
	v_lshlrev_b32_e32 v80, 1, v80
	s_delay_alu instid0(VALU_DEP_1) | instskip(SKIP_1) | instid1(VALU_DEP_1)
	v_lshlrev_b64_e32 v[114:115], 4, v[80:81]
	v_lshlrev_b32_e32 v80, 4, v95
	v_add3_u32 v79, 0, v97, v80
	ds_store_b128 v238, v[6:9]
	ds_store_b128 v238, v[10:13] offset:2160
	ds_store_b128 v238, v[46:49] offset:14400
	ds_store_b128 v238, v[54:57] offset:16560
	ds_store_b128 v238, v[14:17] offset:4320
	ds_store_b128 v238, v[42:45] offset:7200
	ds_store_b128 v238, v[50:53] offset:9360
	ds_store_b128 v238, v[58:61] offset:11520
	ds_store_b128 v238, v[62:65] offset:18720
	ds_store_b128 v96, v[18:21]
	ds_store_b128 v96, v[66:69] offset:7200
	ds_store_b128 v96, v[70:73] offset:14400
	ds_store_b128 v238, v[22:25] offset:23040
	ds_store_b128 v238, v[26:29] offset:25200
	ds_store_b128 v238, v[74:77] offset:30240
	ds_store_b128 v238, v[102:105] offset:32400
	ds_store_b128 v238, v[98:101] offset:37440
	ds_store_b128 v238, v[106:109] offset:39600
	;; [unrolled: 9-line block ×3, first 2 shown]
	ds_store_b128 v78, v[38:41] offset:43200
	ds_store_b128 v78, v[148:151] offset:50400
	ds_store_b128 v78, v[152:155] offset:57600
	global_wb scope:SCOPE_SE
	s_wait_dscnt 0x0
	s_barrier_signal -1
	s_barrier_wait -1
	global_inv scope:SCOPE_SE
	s_clause 0x2
	global_load_b128 v[0:3], v[124:125], off offset:21440
	global_load_b128 v[8:11], v[86:87], off offset:21440
	global_load_b128 v[4:7], v[124:125], off offset:21456
	v_lshlrev_b32_e32 v80, 1, v252
	v_add_co_u32 v36, s0, s8, v88
	s_wait_alu 0xf1ff
	v_add_co_ci_u32_e64 v37, s0, s9, v89, s0
	s_delay_alu instid0(VALU_DEP_3) | instskip(SKIP_4) | instid1(VALU_DEP_3)
	v_lshlrev_b64_e32 v[20:21], 4, v[80:81]
	v_lshlrev_b32_e32 v80, 1, v255
	v_add_co_u32 v44, s0, s8, v114
	s_wait_alu 0xf1ff
	v_add_co_ci_u32_e64 v45, s0, s9, v115, s0
	v_lshlrev_b64_e32 v[46:47], 4, v[80:81]
	v_lshlrev_b32_e32 v80, 1, v253
	s_clause 0x1
	global_load_b128 v[12:15], v[86:87], off offset:21456
	global_load_b128 v[16:19], v[84:85], off offset:21440
	v_add_co_u32 v52, s0, s8, v20
	s_wait_alu 0xf1ff
	v_add_co_ci_u32_e64 v53, s0, s9, v21, s0
	v_lshlrev_b64_e32 v[56:57], 4, v[80:81]
	v_lshlrev_b32_e32 v80, 1, v117
	s_clause 0x1
	global_load_b128 v[20:23], v[84:85], off offset:21456
	global_load_b128 v[24:27], v[90:91], off offset:21440
	v_add_co_u32 v60, s0, s8, v46
	v_lshlrev_b64_e32 v[70:71], 4, v[80:81]
	s_wait_alu 0xf1ff
	v_add_co_ci_u32_e64 v61, s0, s9, v47, s0
	s_clause 0x3
	global_load_b128 v[28:31], v[90:91], off offset:21456
	global_load_b128 v[32:35], v[36:37], off offset:21440
	;; [unrolled: 1-line block ×4, first 2 shown]
	v_add_co_u32 v68, s0, s8, v56
	s_wait_alu 0xf1ff
	v_add_co_ci_u32_e64 v69, s0, s9, v57, s0
	s_clause 0x2
	global_load_b128 v[44:47], v[44:45], off offset:21456
	global_load_b128 v[48:51], v[52:53], off offset:21440
	;; [unrolled: 1-line block ×3, first 2 shown]
	v_add_co_u32 v76, s0, s8, v70
	s_wait_alu 0xf1ff
	v_add_co_ci_u32_e64 v77, s0, s9, v71, s0
	s_clause 0x5
	global_load_b128 v[56:59], v[60:61], off offset:21440
	global_load_b128 v[60:63], v[60:61], off offset:21456
	;; [unrolled: 1-line block ×6, first 2 shown]
	ds_load_b128 v[82:85], v238 offset:21600
	ds_load_b128 v[86:89], v238 offset:43200
	;; [unrolled: 1-line block ×20, first 2 shown]
	ds_load_b128 v[170:173], v238
	ds_load_b128 v[174:177], v238 offset:2160
	ds_load_b128 v[178:181], v238 offset:4320
	;; [unrolled: 1-line block ×3, first 2 shown]
	s_wait_loadcnt_dscnt 0x1317
	v_mul_f64_e32 v[114:115], v[84:85], v[2:3]
	s_wait_loadcnt_dscnt 0x1215
	v_mul_f64_e32 v[188:189], v[92:93], v[10:11]
	s_wait_loadcnt 0x11
	v_mul_f64_e32 v[186:187], v[88:89], v[6:7]
	v_mul_f64_e32 v[2:3], v[82:83], v[2:3]
	;; [unrolled: 1-line block ×4, first 2 shown]
	s_wait_loadcnt_dscnt 0x1014
	v_mul_f64_e32 v[190:191], v[96:97], v[14:15]
	v_mul_f64_e32 v[14:15], v[94:95], v[14:15]
	s_wait_loadcnt_dscnt 0xf13
	v_mul_f64_e32 v[192:193], v[100:101], v[18:19]
	v_mul_f64_e32 v[18:19], v[98:99], v[18:19]
	;; [unrolled: 3-line block ×3, first 2 shown]
	s_wait_loadcnt 0xd
	v_mul_f64_e32 v[196:197], v[104:105], v[26:27]
	v_mul_f64_e32 v[26:27], v[102:103], v[26:27]
	s_wait_loadcnt_dscnt 0xc10
	v_mul_f64_e32 v[198:199], v[112:113], v[30:31]
	v_mul_f64_e32 v[30:31], v[110:111], v[30:31]
	s_wait_loadcnt_dscnt 0xb0f
	;; [unrolled: 3-line block ×3, first 2 shown]
	v_mul_f64_e32 v[202:203], v[132:133], v[38:39]
	v_mul_f64_e32 v[38:39], v[130:131], v[38:39]
	s_wait_loadcnt 0x9
	v_mul_f64_e32 v[204:205], v[128:129], v[42:43]
	v_mul_f64_e32 v[42:43], v[126:127], v[42:43]
	s_wait_loadcnt_dscnt 0x80c
	v_mul_f64_e32 v[206:207], v[136:137], v[46:47]
	v_mul_f64_e32 v[46:47], v[134:135], v[46:47]
	s_wait_loadcnt_dscnt 0x70b
	;; [unrolled: 3-line block ×3, first 2 shown]
	v_mul_f64_e32 v[210:211], v[148:149], v[54:55]
	v_mul_f64_e32 v[54:55], v[146:147], v[54:55]
	v_fma_f64 v[82:83], v[82:83], v[0:1], -v[114:115]
	s_wait_loadcnt 0x5
	v_mul_f64_e32 v[114:115], v[144:145], v[58:59]
	v_mul_f64_e32 v[58:59], v[142:143], v[58:59]
	s_wait_loadcnt_dscnt 0x408
	v_mul_f64_e32 v[212:213], v[152:153], v[62:63]
	v_mul_f64_e32 v[62:63], v[150:151], v[62:63]
	v_fma_f64 v[86:87], v[86:87], v[4:5], -v[186:187]
	s_wait_loadcnt_dscnt 0x307
	v_mul_f64_e32 v[186:187], v[156:157], v[66:67]
	v_mul_f64_e32 v[66:67], v[154:155], v[66:67]
	s_wait_loadcnt_dscnt 0x205
	v_mul_f64_e32 v[214:215], v[164:165], v[70:71]
	v_mul_f64_e32 v[70:71], v[162:163], v[70:71]
	v_fma_f64 v[90:91], v[90:91], v[8:9], -v[188:189]
	s_wait_loadcnt 0x1
	v_mul_f64_e32 v[188:189], v[160:161], v[74:75]
	v_mul_f64_e32 v[74:75], v[158:159], v[74:75]
	s_wait_loadcnt_dscnt 0x4
	v_mul_f64_e32 v[216:217], v[168:169], v[78:79]
	v_mul_f64_e32 v[78:79], v[166:167], v[78:79]
	v_fma_f64 v[84:85], v[84:85], v[0:1], v[2:3]
	v_fma_f64 v[88:89], v[88:89], v[4:5], v[6:7]
	;; [unrolled: 1-line block ×3, first 2 shown]
	v_fma_f64 v[94:95], v[94:95], v[12:13], -v[190:191]
	v_fma_f64 v[96:97], v[96:97], v[12:13], v[14:15]
	v_fma_f64 v[98:99], v[98:99], v[16:17], -v[192:193]
	v_fma_f64 v[100:101], v[100:101], v[16:17], v[18:19]
	v_fma_f64 v[106:107], v[106:107], v[20:21], -v[194:195]
	v_fma_f64 v[108:109], v[108:109], v[20:21], v[22:23]
	v_fma_f64 v[102:103], v[102:103], v[24:25], -v[196:197]
	v_fma_f64 v[24:25], v[104:105], v[24:25], v[26:27]
	v_fma_f64 v[104:105], v[110:111], v[28:29], -v[198:199]
	v_fma_f64 v[110:111], v[112:113], v[28:29], v[30:31]
	v_fma_f64 v[26:27], v[122:123], v[32:33], -v[200:201]
	v_fma_f64 v[28:29], v[124:125], v[32:33], v[34:35]
	v_fma_f64 v[112:113], v[130:131], v[36:37], -v[202:203]
	v_fma_f64 v[122:123], v[132:133], v[36:37], v[38:39]
	v_fma_f64 v[30:31], v[126:127], v[40:41], -v[204:205]
	v_fma_f64 v[32:33], v[128:129], v[40:41], v[42:43]
	v_fma_f64 v[40:41], v[134:135], v[44:45], -v[206:207]
	v_fma_f64 v[42:43], v[136:137], v[44:45], v[46:47]
	v_fma_f64 v[34:35], v[138:139], v[48:49], -v[208:209]
	v_fma_f64 v[36:37], v[140:141], v[48:49], v[50:51]
	v_fma_f64 v[44:45], v[146:147], v[52:53], -v[210:211]
	v_fma_f64 v[46:47], v[148:149], v[52:53], v[54:55]
	v_fma_f64 v[38:39], v[142:143], v[56:57], -v[114:115]
	v_fma_f64 v[48:49], v[144:145], v[56:57], v[58:59]
	v_fma_f64 v[50:51], v[150:151], v[60:61], -v[212:213]
	v_fma_f64 v[52:53], v[152:153], v[60:61], v[62:63]
	v_fma_f64 v[54:55], v[154:155], v[64:65], -v[186:187]
	v_fma_f64 v[56:57], v[156:157], v[64:65], v[66:67]
	v_fma_f64 v[58:59], v[162:163], v[68:69], -v[214:215]
	v_fma_f64 v[60:61], v[164:165], v[68:69], v[70:71]
	ds_load_b128 v[0:3], v238 offset:8640
	ds_load_b128 v[4:7], v238 offset:10800
	v_fma_f64 v[62:63], v[158:159], v[72:73], -v[188:189]
	v_fma_f64 v[64:65], v[160:161], v[72:73], v[74:75]
	v_fma_f64 v[66:67], v[166:167], v[76:77], -v[216:217]
	v_fma_f64 v[68:69], v[168:169], v[76:77], v[78:79]
	ds_load_b128 v[8:11], v238 offset:12960
	ds_load_b128 v[12:15], v238 offset:15120
	;; [unrolled: 1-line block ×4, first 2 shown]
	v_add_f64_e32 v[70:71], v[82:83], v[86:87]
	v_add_f64_e32 v[72:73], v[84:85], v[88:89]
	s_wait_dscnt 0x9
	v_add_f64_e32 v[74:75], v[172:173], v[84:85]
	v_add_f64_e64 v[78:79], v[84:85], -v[88:89]
	v_add_f64_e32 v[84:85], v[90:91], v[94:95]
	v_add_f64_e32 v[114:115], v[92:93], v[96:97]
	v_add_f64_e32 v[76:77], v[170:171], v[82:83]
	v_add_f64_e32 v[128:129], v[98:99], v[106:107]
	v_add_f64_e32 v[130:131], v[100:101], v[108:109]
	v_add_f64_e32 v[136:137], v[102:103], v[104:105]
	v_add_f64_e32 v[138:139], v[24:25], v[110:111]
	s_wait_dscnt 0x8
	v_add_f64_e32 v[126:127], v[174:175], v[90:91]
	v_add_f64_e32 v[124:125], v[176:177], v[92:93]
	;; [unrolled: 1-line block ×4, first 2 shown]
	s_wait_dscnt 0x6
	v_add_f64_e32 v[142:143], v[182:183], v[102:103]
	v_add_f64_e32 v[132:133], v[180:181], v[100:101]
	;; [unrolled: 1-line block ×8, first 2 shown]
	s_wait_dscnt 0x5
	v_add_f64_e32 v[152:153], v[0:1], v[26:27]
	v_add_f64_e32 v[150:151], v[2:3], v[28:29]
	;; [unrolled: 1-line block ×4, first 2 shown]
	s_wait_dscnt 0x2
	v_add_f64_e32 v[202:203], v[14:15], v[48:49]
	v_add_f64_e64 v[206:207], v[48:49], -v[52:53]
	v_add_f64_e32 v[48:49], v[54:55], v[58:59]
	v_add_f64_e32 v[210:211], v[56:57], v[60:61]
	s_wait_dscnt 0x1
	v_add_f64_e32 v[212:213], v[18:19], v[56:57]
	v_add_f64_e32 v[214:215], v[16:17], v[54:55]
	v_add_f64_e64 v[216:217], v[56:57], -v[60:61]
	v_add_f64_e64 v[218:219], v[54:55], -v[58:59]
	v_add_f64_e32 v[54:55], v[62:63], v[66:67]
	v_add_f64_e32 v[56:57], v[64:65], v[68:69]
	;; [unrolled: 1-line block ×7, first 2 shown]
	s_wait_dscnt 0x0
	v_add_f64_e32 v[220:221], v[22:23], v[64:65]
	v_add_f64_e32 v[222:223], v[20:21], v[62:63]
	v_add_f64_e64 v[82:83], v[82:83], -v[86:87]
	v_add_f64_e64 v[224:225], v[64:65], -v[68:69]
	;; [unrolled: 1-line block ×3, first 2 shown]
	v_fma_f64 v[62:63], v[70:71], -0.5, v[170:171]
	v_fma_f64 v[64:65], v[72:73], -0.5, v[172:173]
	v_add_f64_e64 v[92:93], v[92:93], -v[96:97]
	v_add_f64_e64 v[90:91], v[90:91], -v[94:95]
	v_fma_f64 v[70:71], v[84:85], -0.5, v[174:175]
	v_fma_f64 v[72:73], v[114:115], -0.5, v[176:177]
	v_add_f64_e64 v[100:101], v[100:101], -v[108:109]
	v_add_f64_e64 v[98:99], v[98:99], -v[106:107]
	;; [unrolled: 1-line block ×4, first 2 shown]
	v_add_f64_e32 v[26:27], v[74:75], v[88:89]
	v_add_f64_e32 v[24:25], v[76:77], v[86:87]
	v_fma_f64 v[74:75], v[128:129], -0.5, v[178:179]
	v_fma_f64 v[76:77], v[130:131], -0.5, v[180:181]
	v_add_f64_e64 v[102:103], v[102:103], -v[104:105]
	v_fma_f64 v[84:85], v[136:137], -0.5, v[182:183]
	v_fma_f64 v[86:87], v[138:139], -0.5, v[184:185]
	v_add_f64_e64 v[154:155], v[28:29], -v[122:123]
	v_add_f64_e32 v[28:29], v[126:127], v[94:95]
	v_fma_f64 v[88:89], v[146:147], -0.5, v[0:1]
	v_fma_f64 v[94:95], v[148:149], -0.5, v[2:3]
	v_add_f64_e64 v[166:167], v[32:33], -v[42:43]
	v_add_f64_e64 v[168:169], v[30:31], -v[40:41]
	v_add_f64_e64 v[194:195], v[36:37], -v[46:47]
	v_add_f64_e32 v[30:31], v[124:125], v[96:97]
	v_add_f64_e32 v[36:37], v[142:143], v[104:105]
	v_fma_f64 v[96:97], v[158:159], -0.5, v[4:5]
	v_fma_f64 v[104:105], v[160:161], -0.5, v[6:7]
	v_add_f64_e64 v[196:197], v[34:35], -v[44:45]
	v_add_f64_e32 v[34:35], v[132:133], v[108:109]
	v_add_f64_e32 v[32:33], v[134:135], v[106:107]
	v_fma_f64 v[106:107], v[186:187], -0.5, v[8:9]
	v_fma_f64 v[108:109], v[188:189], -0.5, v[10:11]
	v_add_f64_e64 v[208:209], v[38:39], -v[50:51]
	v_add_f64_e32 v[38:39], v[140:141], v[110:111]
	v_add_f64_e32 v[0:1], v[152:153], v[112:113]
	v_fma_f64 v[110:111], v[198:199], -0.5, v[12:13]
	v_fma_f64 v[112:113], v[200:201], -0.5, v[14:15]
	v_add_f64_e32 v[2:3], v[150:151], v[122:123]
	v_fma_f64 v[114:115], v[48:49], -0.5, v[16:17]
	v_fma_f64 v[122:123], v[210:211], -0.5, v[18:19]
	;; [unrolled: 1-line block ×4, first 2 shown]
	v_add_f64_e32 v[6:7], v[162:163], v[42:43]
	v_add_f64_e32 v[4:5], v[164:165], v[40:41]
	;; [unrolled: 1-line block ×10, first 2 shown]
	v_fma_f64 v[40:41], v[78:79], s[4:5], v[62:63]
	v_fma_f64 v[42:43], v[82:83], s[10:11], v[64:65]
	;; [unrolled: 1-line block ×40, first 2 shown]
	global_wb scope:SCOPE_SE
	s_barrier_signal -1
	s_barrier_wait -1
	global_inv scope:SCOPE_SE
	ds_store_b128 v238, v[24:27]
	ds_store_b128 v238, v[28:31] offset:2160
	ds_store_b128 v238, v[32:35] offset:4320
	;; [unrolled: 1-line block ×29, first 2 shown]
	global_wb scope:SCOPE_SE
	s_wait_dscnt 0x0
	s_barrier_signal -1
	s_barrier_wait -1
	global_inv scope:SCOPE_SE
	s_and_saveexec_b32 s0, vcc_lo
	s_cbranch_execz .LBB0_21
; %bb.20:
	v_mul_lo_u32 v2, s3, v120
	v_mul_lo_u32 v3, s2, v121
	v_mad_co_u64_u32 v[0:1], null, s2, v120, 0
	v_mov_b32_e32 v252, v81
	v_lshlrev_b64_e32 v[8:9], 4, v[118:119]
	v_lshl_add_u32 v34, v251, 4, 0
	v_add_nc_u32_e32 v80, 0x87, v251
	s_delay_alu instid0(VALU_DEP_4) | instskip(SKIP_1) | instid1(VALU_DEP_3)
	v_lshlrev_b64_e32 v[10:11], 4, v[251:252]
	v_add3_u32 v1, v1, v3, v2
	v_lshlrev_b64_e32 v[16:17], 4, v[80:81]
	v_add_nc_u32_e32 v80, 0x10e, v251
	s_delay_alu instid0(VALU_DEP_3)
	v_lshlrev_b64_e32 v[12:13], 4, v[0:1]
	ds_load_b128 v[0:3], v34
	ds_load_b128 v[4:7], v34 offset:2160
	v_lshlrev_b64_e32 v[18:19], 4, v[80:81]
	v_add_nc_u32_e32 v80, 0x195, v251
	v_add_co_u32 v12, vcc_lo, s6, v12
	s_wait_alu 0xfffd
	v_add_co_ci_u32_e32 v13, vcc_lo, s7, v13, vcc_lo
	s_delay_alu instid0(VALU_DEP_3) | instskip(NEXT) | instid1(VALU_DEP_3)
	v_lshlrev_b64_e32 v[22:23], 4, v[80:81]
	v_add_co_u32 v36, vcc_lo, v12, v8
	s_wait_alu 0xfffd
	s_delay_alu instid0(VALU_DEP_3) | instskip(SKIP_1) | instid1(VALU_DEP_3)
	v_add_co_ci_u32_e32 v37, vcc_lo, v13, v9, vcc_lo
	v_add_nc_u32_e32 v80, 0x21c, v251
	v_add_co_u32 v20, vcc_lo, v36, v10
	s_wait_alu 0xfffd
	s_delay_alu instid0(VALU_DEP_3)
	v_add_co_ci_u32_e32 v21, vcc_lo, v37, v11, vcc_lo
	ds_load_b128 v[8:11], v34 offset:4320
	ds_load_b128 v[12:15], v34 offset:6480
	v_add_co_u32 v16, vcc_lo, v36, v16
	s_wait_alu 0xfffd
	v_add_co_ci_u32_e32 v17, vcc_lo, v37, v17, vcc_lo
	v_add_co_u32 v18, vcc_lo, v36, v18
	s_wait_alu 0xfffd
	v_add_co_ci_u32_e32 v19, vcc_lo, v37, v19, vcc_lo
	v_add_co_u32 v22, vcc_lo, v36, v22
	v_lshlrev_b64_e32 v[24:25], 4, v[80:81]
	v_add_nc_u32_e32 v80, 0x2a3, v251
	s_wait_alu 0xfffd
	v_add_co_ci_u32_e32 v23, vcc_lo, v37, v23, vcc_lo
	s_wait_dscnt 0x3
	global_store_b128 v[20:21], v[0:3], off
	s_wait_dscnt 0x2
	global_store_b128 v[16:17], v[4:7], off
	;; [unrolled: 2-line block ×4, first 2 shown]
	v_lshlrev_b64_e32 v[16:17], 4, v[80:81]
	v_add_nc_u32_e32 v80, 0x32a, v251
	ds_load_b128 v[0:3], v34 offset:8640
	ds_load_b128 v[4:7], v34 offset:10800
	;; [unrolled: 1-line block ×4, first 2 shown]
	v_add_co_u32 v18, vcc_lo, v36, v24
	v_lshlrev_b64_e32 v[20:21], 4, v[80:81]
	v_add_nc_u32_e32 v80, 0x3b1, v251
	s_wait_alu 0xfffd
	v_add_co_ci_u32_e32 v19, vcc_lo, v37, v25, vcc_lo
	v_add_co_u32 v16, vcc_lo, v36, v16
	s_delay_alu instid0(VALU_DEP_3)
	v_lshlrev_b64_e32 v[22:23], 4, v[80:81]
	v_add_nc_u32_e32 v80, 0x438, v251
	s_wait_alu 0xfffd
	v_add_co_ci_u32_e32 v17, vcc_lo, v37, v17, vcc_lo
	v_add_co_u32 v20, vcc_lo, v36, v20
	s_wait_alu 0xfffd
	v_add_co_ci_u32_e32 v21, vcc_lo, v37, v21, vcc_lo
	v_add_co_u32 v22, vcc_lo, v36, v22
	v_lshlrev_b64_e32 v[24:25], 4, v[80:81]
	v_add_nc_u32_e32 v80, 0x4bf, v251
	s_wait_alu 0xfffd
	v_add_co_ci_u32_e32 v23, vcc_lo, v37, v23, vcc_lo
	s_wait_dscnt 0x3
	global_store_b128 v[18:19], v[0:3], off
	s_wait_dscnt 0x2
	global_store_b128 v[16:17], v[4:7], off
	s_wait_dscnt 0x1
	global_store_b128 v[20:21], v[8:11], off
	s_wait_dscnt 0x0
	global_store_b128 v[22:23], v[12:15], off
	ds_load_b128 v[0:3], v34 offset:17280
	ds_load_b128 v[4:7], v34 offset:19440
	v_lshlrev_b64_e32 v[16:17], 4, v[80:81]
	v_add_nc_u32_e32 v80, 0x546, v251
	ds_load_b128 v[8:11], v34 offset:21600
	ds_load_b128 v[12:15], v34 offset:23760
	v_add_co_u32 v18, vcc_lo, v36, v24
	s_wait_alu 0xfffd
	v_add_co_ci_u32_e32 v19, vcc_lo, v37, v25, vcc_lo
	v_lshlrev_b64_e32 v[20:21], 4, v[80:81]
	v_add_nc_u32_e32 v80, 0x5cd, v251
	v_add_co_u32 v16, vcc_lo, v36, v16
	s_wait_alu 0xfffd
	v_add_co_ci_u32_e32 v17, vcc_lo, v37, v17, vcc_lo
	s_delay_alu instid0(VALU_DEP_3) | instskip(SKIP_4) | instid1(VALU_DEP_4)
	v_lshlrev_b64_e32 v[22:23], 4, v[80:81]
	v_add_nc_u32_e32 v80, 0x654, v251
	v_add_co_u32 v20, vcc_lo, v36, v20
	s_wait_alu 0xfffd
	v_add_co_ci_u32_e32 v21, vcc_lo, v37, v21, vcc_lo
	v_add_co_u32 v22, vcc_lo, v36, v22
	v_lshlrev_b64_e32 v[24:25], 4, v[80:81]
	v_add_nc_u32_e32 v80, 0x6db, v251
	s_wait_alu 0xfffd
	v_add_co_ci_u32_e32 v23, vcc_lo, v37, v23, vcc_lo
	s_wait_dscnt 0x3
	global_store_b128 v[18:19], v[0:3], off
	s_wait_dscnt 0x2
	global_store_b128 v[16:17], v[4:7], off
	s_wait_dscnt 0x1
	global_store_b128 v[20:21], v[8:11], off
	s_wait_dscnt 0x0
	global_store_b128 v[22:23], v[12:15], off
	ds_load_b128 v[0:3], v34 offset:25920
	ds_load_b128 v[4:7], v34 offset:28080
	v_lshlrev_b64_e32 v[16:17], 4, v[80:81]
	v_add_nc_u32_e32 v80, 0x762, v251
	ds_load_b128 v[8:11], v34 offset:30240
	ds_load_b128 v[12:15], v34 offset:32400
	v_add_co_u32 v18, vcc_lo, v36, v24
	s_wait_alu 0xfffd
	v_add_co_ci_u32_e32 v19, vcc_lo, v37, v25, vcc_lo
	v_lshlrev_b64_e32 v[20:21], 4, v[80:81]
	v_add_nc_u32_e32 v80, 0x7e9, v251
	v_add_co_u32 v16, vcc_lo, v36, v16
	s_wait_alu 0xfffd
	v_add_co_ci_u32_e32 v17, vcc_lo, v37, v17, vcc_lo
	s_delay_alu instid0(VALU_DEP_3) | instskip(SKIP_4) | instid1(VALU_DEP_4)
	v_lshlrev_b64_e32 v[22:23], 4, v[80:81]
	v_add_nc_u32_e32 v80, 0x870, v251
	;; [unrolled: 33-line block ×3, first 2 shown]
	v_add_co_u32 v20, vcc_lo, v36, v20
	s_wait_alu 0xfffd
	v_add_co_ci_u32_e32 v21, vcc_lo, v37, v21, vcc_lo
	v_add_co_u32 v22, vcc_lo, v36, v22
	v_lshlrev_b64_e32 v[24:25], 4, v[80:81]
	v_add_nc_u32_e32 v80, 0xb13, v251
	s_wait_alu 0xfffd
	v_add_co_ci_u32_e32 v23, vcc_lo, v37, v23, vcc_lo
	s_wait_dscnt 0x3
	global_store_b128 v[18:19], v[0:3], off
	s_wait_dscnt 0x2
	global_store_b128 v[16:17], v[4:7], off
	;; [unrolled: 2-line block ×4, first 2 shown]
	ds_load_b128 v[0:3], v34 offset:43200
	ds_load_b128 v[4:7], v34 offset:45360
	v_lshlrev_b64_e32 v[16:17], 4, v[80:81]
	v_add_nc_u32_e32 v80, 0xb9a, v251
	ds_load_b128 v[8:11], v34 offset:47520
	ds_load_b128 v[12:15], v34 offset:49680
	v_add_co_u32 v18, vcc_lo, v36, v24
	s_wait_alu 0xfffd
	v_add_co_ci_u32_e32 v19, vcc_lo, v37, v25, vcc_lo
	v_lshlrev_b64_e32 v[20:21], 4, v[80:81]
	v_add_nc_u32_e32 v80, 0xc21, v251
	v_add_co_u32 v16, vcc_lo, v36, v16
	s_wait_alu 0xfffd
	v_add_co_ci_u32_e32 v17, vcc_lo, v37, v17, vcc_lo
	s_delay_alu instid0(VALU_DEP_3) | instskip(SKIP_4) | instid1(VALU_DEP_3)
	v_lshlrev_b64_e32 v[22:23], 4, v[80:81]
	v_add_nc_u32_e32 v80, 0xca8, v251
	v_add_co_u32 v20, vcc_lo, v36, v20
	s_wait_alu 0xfffd
	v_add_co_ci_u32_e32 v21, vcc_lo, v37, v21, vcc_lo
	v_lshlrev_b64_e32 v[24:25], 4, v[80:81]
	v_add_nc_u32_e32 v80, 0xd2f, v251
	v_add_co_u32 v22, vcc_lo, v36, v22
	s_wait_alu 0xfffd
	v_add_co_ci_u32_e32 v23, vcc_lo, v37, v23, vcc_lo
	s_wait_dscnt 0x3
	global_store_b128 v[18:19], v[0:3], off
	s_wait_dscnt 0x2
	global_store_b128 v[16:17], v[4:7], off
	;; [unrolled: 2-line block ×4, first 2 shown]
	v_lshlrev_b64_e32 v[8:9], 4, v[80:81]
	v_add_nc_u32_e32 v80, 0xdb6, v251
	v_add_co_u32 v24, vcc_lo, v36, v24
	s_wait_alu 0xfffd
	v_add_co_ci_u32_e32 v25, vcc_lo, v37, v25, vcc_lo
	s_delay_alu instid0(VALU_DEP_3) | instskip(SKIP_4) | instid1(VALU_DEP_4)
	v_lshlrev_b64_e32 v[10:11], 4, v[80:81]
	v_add_co_u32 v26, vcc_lo, v36, v8
	v_add_nc_u32_e32 v80, 0xe3d, v251
	s_wait_alu 0xfffd
	v_add_co_ci_u32_e32 v27, vcc_lo, v37, v9, vcc_lo
	v_add_co_u32 v30, vcc_lo, v36, v10
	ds_load_b128 v[0:3], v34 offset:51840
	ds_load_b128 v[4:7], v34 offset:54000
	s_wait_alu 0xfffd
	v_add_co_ci_u32_e32 v31, vcc_lo, v37, v11, vcc_lo
	ds_load_b128 v[8:11], v34 offset:56160
	ds_load_b128 v[12:15], v34 offset:58320
	;; [unrolled: 1-line block ×4, first 2 shown]
	v_lshlrev_b64_e32 v[28:29], 4, v[80:81]
	v_add_nc_u32_e32 v80, 0xec4, v251
	s_delay_alu instid0(VALU_DEP_1) | instskip(SKIP_1) | instid1(VALU_DEP_4)
	v_lshlrev_b64_e32 v[32:33], 4, v[80:81]
	v_add_nc_u32_e32 v80, 0xf4b, v251
	v_add_co_u32 v28, vcc_lo, v36, v28
	s_wait_alu 0xfffd
	v_add_co_ci_u32_e32 v29, vcc_lo, v37, v29, vcc_lo
	s_delay_alu instid0(VALU_DEP_3) | instskip(SKIP_3) | instid1(VALU_DEP_3)
	v_lshlrev_b64_e32 v[34:35], 4, v[80:81]
	v_add_co_u32 v32, vcc_lo, v36, v32
	s_wait_alu 0xfffd
	v_add_co_ci_u32_e32 v33, vcc_lo, v37, v33, vcc_lo
	v_add_co_u32 v34, vcc_lo, v36, v34
	s_wait_alu 0xfffd
	v_add_co_ci_u32_e32 v35, vcc_lo, v37, v35, vcc_lo
	s_wait_dscnt 0x5
	global_store_b128 v[24:25], v[0:3], off
	s_wait_dscnt 0x4
	global_store_b128 v[26:27], v[4:7], off
	;; [unrolled: 2-line block ×6, first 2 shown]
.LBB0_21:
	s_nop 0
	s_sendmsg sendmsg(MSG_DEALLOC_VGPRS)
	s_endpgm
	.section	.rodata,"a",@progbits
	.p2align	6, 0x0
	.amdhsa_kernel fft_rtc_fwd_len4050_factors_10_5_3_3_3_3_wgs_135_tpt_135_halfLds_dp_op_CI_CI_unitstride_sbrr_C2R_dirReg
		.amdhsa_group_segment_fixed_size 0
		.amdhsa_private_segment_fixed_size 24
		.amdhsa_kernarg_size 104
		.amdhsa_user_sgpr_count 2
		.amdhsa_user_sgpr_dispatch_ptr 0
		.amdhsa_user_sgpr_queue_ptr 0
		.amdhsa_user_sgpr_kernarg_segment_ptr 1
		.amdhsa_user_sgpr_dispatch_id 0
		.amdhsa_user_sgpr_private_segment_size 0
		.amdhsa_wavefront_size32 1
		.amdhsa_uses_dynamic_stack 0
		.amdhsa_enable_private_segment 1
		.amdhsa_system_sgpr_workgroup_id_x 1
		.amdhsa_system_sgpr_workgroup_id_y 0
		.amdhsa_system_sgpr_workgroup_id_z 0
		.amdhsa_system_sgpr_workgroup_info 0
		.amdhsa_system_vgpr_workitem_id 0
		.amdhsa_next_free_vgpr 256
		.amdhsa_next_free_sgpr 39
		.amdhsa_reserve_vcc 1
		.amdhsa_float_round_mode_32 0
		.amdhsa_float_round_mode_16_64 0
		.amdhsa_float_denorm_mode_32 3
		.amdhsa_float_denorm_mode_16_64 3
		.amdhsa_fp16_overflow 0
		.amdhsa_workgroup_processor_mode 1
		.amdhsa_memory_ordered 1
		.amdhsa_forward_progress 0
		.amdhsa_round_robin_scheduling 0
		.amdhsa_exception_fp_ieee_invalid_op 0
		.amdhsa_exception_fp_denorm_src 0
		.amdhsa_exception_fp_ieee_div_zero 0
		.amdhsa_exception_fp_ieee_overflow 0
		.amdhsa_exception_fp_ieee_underflow 0
		.amdhsa_exception_fp_ieee_inexact 0
		.amdhsa_exception_int_div_zero 0
	.end_amdhsa_kernel
	.text
.Lfunc_end0:
	.size	fft_rtc_fwd_len4050_factors_10_5_3_3_3_3_wgs_135_tpt_135_halfLds_dp_op_CI_CI_unitstride_sbrr_C2R_dirReg, .Lfunc_end0-fft_rtc_fwd_len4050_factors_10_5_3_3_3_3_wgs_135_tpt_135_halfLds_dp_op_CI_CI_unitstride_sbrr_C2R_dirReg
                                        ; -- End function
	.section	.AMDGPU.csdata,"",@progbits
; Kernel info:
; codeLenInByte = 26028
; NumSgprs: 41
; NumVgprs: 256
; ScratchSize: 24
; MemoryBound: 0
; FloatMode: 240
; IeeeMode: 1
; LDSByteSize: 0 bytes/workgroup (compile time only)
; SGPRBlocks: 5
; VGPRBlocks: 31
; NumSGPRsForWavesPerEU: 41
; NumVGPRsForWavesPerEU: 256
; Occupancy: 5
; WaveLimiterHint : 1
; COMPUTE_PGM_RSRC2:SCRATCH_EN: 1
; COMPUTE_PGM_RSRC2:USER_SGPR: 2
; COMPUTE_PGM_RSRC2:TRAP_HANDLER: 0
; COMPUTE_PGM_RSRC2:TGID_X_EN: 1
; COMPUTE_PGM_RSRC2:TGID_Y_EN: 0
; COMPUTE_PGM_RSRC2:TGID_Z_EN: 0
; COMPUTE_PGM_RSRC2:TIDIG_COMP_CNT: 0
	.text
	.p2alignl 7, 3214868480
	.fill 96, 4, 3214868480
	.type	__hip_cuid_80986c54d141808f,@object ; @__hip_cuid_80986c54d141808f
	.section	.bss,"aw",@nobits
	.globl	__hip_cuid_80986c54d141808f
__hip_cuid_80986c54d141808f:
	.byte	0                               ; 0x0
	.size	__hip_cuid_80986c54d141808f, 1

	.ident	"AMD clang version 19.0.0git (https://github.com/RadeonOpenCompute/llvm-project roc-6.4.0 25133 c7fe45cf4b819c5991fe208aaa96edf142730f1d)"
	.section	".note.GNU-stack","",@progbits
	.addrsig
	.addrsig_sym __hip_cuid_80986c54d141808f
	.amdgpu_metadata
---
amdhsa.kernels:
  - .args:
      - .actual_access:  read_only
        .address_space:  global
        .offset:         0
        .size:           8
        .value_kind:     global_buffer
      - .offset:         8
        .size:           8
        .value_kind:     by_value
      - .actual_access:  read_only
        .address_space:  global
        .offset:         16
        .size:           8
        .value_kind:     global_buffer
      - .actual_access:  read_only
        .address_space:  global
        .offset:         24
        .size:           8
        .value_kind:     global_buffer
      - .actual_access:  read_only
        .address_space:  global
        .offset:         32
        .size:           8
        .value_kind:     global_buffer
      - .offset:         40
        .size:           8
        .value_kind:     by_value
      - .actual_access:  read_only
        .address_space:  global
        .offset:         48
        .size:           8
        .value_kind:     global_buffer
      - .actual_access:  read_only
        .address_space:  global
        .offset:         56
        .size:           8
        .value_kind:     global_buffer
      - .offset:         64
        .size:           4
        .value_kind:     by_value
      - .actual_access:  read_only
        .address_space:  global
        .offset:         72
        .size:           8
        .value_kind:     global_buffer
      - .actual_access:  read_only
        .address_space:  global
        .offset:         80
        .size:           8
        .value_kind:     global_buffer
      - .actual_access:  read_only
        .address_space:  global
        .offset:         88
        .size:           8
        .value_kind:     global_buffer
      - .actual_access:  write_only
        .address_space:  global
        .offset:         96
        .size:           8
        .value_kind:     global_buffer
    .group_segment_fixed_size: 0
    .kernarg_segment_align: 8
    .kernarg_segment_size: 104
    .language:       OpenCL C
    .language_version:
      - 2
      - 0
    .max_flat_workgroup_size: 135
    .name:           fft_rtc_fwd_len4050_factors_10_5_3_3_3_3_wgs_135_tpt_135_halfLds_dp_op_CI_CI_unitstride_sbrr_C2R_dirReg
    .private_segment_fixed_size: 24
    .sgpr_count:     41
    .sgpr_spill_count: 0
    .symbol:         fft_rtc_fwd_len4050_factors_10_5_3_3_3_3_wgs_135_tpt_135_halfLds_dp_op_CI_CI_unitstride_sbrr_C2R_dirReg.kd
    .uniform_work_group_size: 1
    .uses_dynamic_stack: false
    .vgpr_count:     256
    .vgpr_spill_count: 6
    .wavefront_size: 32
    .workgroup_processor_mode: 1
amdhsa.target:   amdgcn-amd-amdhsa--gfx1201
amdhsa.version:
  - 1
  - 2
...

	.end_amdgpu_metadata
